;; amdgpu-corpus repo=ROCm/rocFFT kind=compiled arch=gfx1201 opt=O3
	.text
	.amdgcn_target "amdgcn-amd-amdhsa--gfx1201"
	.amdhsa_code_object_version 6
	.protected	bluestein_single_back_len1666_dim1_dp_op_CI_CI ; -- Begin function bluestein_single_back_len1666_dim1_dp_op_CI_CI
	.globl	bluestein_single_back_len1666_dim1_dp_op_CI_CI
	.p2align	8
	.type	bluestein_single_back_len1666_dim1_dp_op_CI_CI,@function
bluestein_single_back_len1666_dim1_dp_op_CI_CI: ; @bluestein_single_back_len1666_dim1_dp_op_CI_CI
; %bb.0:
	s_load_b128 s[8:11], s[0:1], 0x28
	v_mul_u32_u24_e32 v1, 0x227, v0
	s_mov_b32 s2, exec_lo
	v_mov_b32_e32 v244, 0
	s_delay_alu instid0(VALU_DEP_2) | instskip(NEXT) | instid1(VALU_DEP_1)
	v_lshrrev_b32_e32 v1, 16, v1
	v_add_nc_u32_e32 v243, ttmp9, v1
	s_wait_kmcnt 0x0
	s_delay_alu instid0(VALU_DEP_1)
	v_cmpx_gt_u64_e64 s[8:9], v[243:244]
	s_cbranch_execz .LBB0_15
; %bb.1:
	s_clause 0x1
	s_load_b64 s[8:9], s[0:1], 0x0
	s_load_b64 s[12:13], s[0:1], 0x38
	v_mul_lo_u16 v1, 0x77, v1
	s_delay_alu instid0(VALU_DEP_1) | instskip(NEXT) | instid1(VALU_DEP_1)
	v_sub_nc_u16 v0, v0, v1
	v_and_b32_e32 v242, 0xffff, v0
	v_cmp_gt_u16_e32 vcc_lo, 0x62, v0
	s_delay_alu instid0(VALU_DEP_2)
	v_lshlrev_b32_e32 v241, 4, v242
	s_and_saveexec_b32 s3, vcc_lo
	s_cbranch_execz .LBB0_3
; %bb.2:
	s_load_b64 s[4:5], s[0:1], 0x18
	s_wait_kmcnt 0x0
	s_load_b128 s[4:7], s[4:5], 0x0
	s_wait_kmcnt 0x0
	v_mad_co_u64_u32 v[16:17], null, s6, v243, 0
	v_mad_co_u64_u32 v[32:33], null, s4, v242, 0
	s_delay_alu instid0(VALU_DEP_1) | instskip(NEXT) | instid1(VALU_DEP_1)
	v_dual_mov_b32 v0, v17 :: v_dual_mov_b32 v1, v33
	v_mad_co_u64_u32 v[2:3], null, s7, v243, v[0:1]
	s_delay_alu instid0(VALU_DEP_1)
	v_mad_co_u64_u32 v[18:19], null, s5, v242, v[1:2]
	v_mov_b32_e32 v17, v2
	s_mul_u64 s[4:5], s[4:5], 0x620
	s_clause 0x3
	global_load_b128 v[0:3], v241, s[8:9]
	global_load_b128 v[4:7], v241, s[8:9] offset:1568
	global_load_b128 v[8:11], v241, s[8:9] offset:3136
	;; [unrolled: 1-line block ×3, first 2 shown]
	v_lshlrev_b64_e32 v[34:35], 4, v[16:17]
	v_mov_b32_e32 v33, v18
	s_clause 0x3
	global_load_b128 v[16:19], v241, s[8:9] offset:6272
	global_load_b128 v[20:23], v241, s[8:9] offset:7840
	;; [unrolled: 1-line block ×4, first 2 shown]
	v_add_co_u32 v42, s2, s10, v34
	v_lshlrev_b64_e32 v[40:41], 4, v[32:33]
	v_add_co_ci_u32_e64 v43, s2, s11, v35, s2
	s_clause 0x1
	global_load_b128 v[32:35], v241, s[8:9] offset:12544
	global_load_b128 v[36:39], v241, s[8:9] offset:14112
	v_add_co_u32 v56, s2, v42, v40
	s_wait_alu 0xf1ff
	v_add_co_ci_u32_e64 v57, s2, v43, v41, s2
	s_clause 0x1
	global_load_b128 v[40:43], v241, s[8:9] offset:15680
	global_load_b128 v[44:47], v241, s[8:9] offset:17248
	s_wait_alu 0xfffe
	v_add_co_u32 v60, s2, v56, s4
	s_wait_alu 0xf1ff
	v_add_co_ci_u32_e64 v61, s2, s5, v57, s2
	s_clause 0x1
	global_load_b128 v[48:51], v241, s[8:9] offset:18816
	global_load_b128 v[52:55], v241, s[8:9] offset:20384
	v_add_co_u32 v64, s2, v60, s4
	s_wait_alu 0xf1ff
	v_add_co_ci_u32_e64 v65, s2, s5, v61, s2
	s_clause 0x1
	global_load_b128 v[56:59], v[56:57], off
	global_load_b128 v[60:63], v[60:61], off
	v_add_co_u32 v68, s2, v64, s4
	s_wait_alu 0xf1ff
	v_add_co_ci_u32_e64 v69, s2, s5, v65, s2
	s_delay_alu instid0(VALU_DEP_2) | instskip(SKIP_1) | instid1(VALU_DEP_2)
	v_add_co_u32 v72, s2, v68, s4
	s_wait_alu 0xf1ff
	v_add_co_ci_u32_e64 v73, s2, s5, v69, s2
	s_clause 0x1
	global_load_b128 v[64:67], v[64:65], off
	global_load_b128 v[68:71], v[68:69], off
	v_add_co_u32 v76, s2, v72, s4
	s_wait_alu 0xf1ff
	v_add_co_ci_u32_e64 v77, s2, s5, v73, s2
	global_load_b128 v[72:75], v[72:73], off
	v_add_co_u32 v80, s2, v76, s4
	s_wait_alu 0xf1ff
	v_add_co_ci_u32_e64 v81, s2, s5, v77, s2
	;; [unrolled: 4-line block ×12, first 2 shown]
	s_clause 0x1
	global_load_b128 v[116:119], v241, s[8:9] offset:21952
	global_load_b128 v[120:123], v241, s[8:9] offset:23520
	global_load_b128 v[124:127], v[124:125], off
	global_load_b128 v[128:131], v241, s[8:9] offset:25088
	global_load_b128 v[132:135], v[132:133], off
	s_wait_loadcnt 0x13
	v_mul_f64_e32 v[136:137], v[58:59], v[2:3]
	v_mul_f64_e32 v[2:3], v[56:57], v[2:3]
	s_wait_loadcnt 0x12
	v_mul_f64_e32 v[138:139], v[62:63], v[6:7]
	v_mul_f64_e32 v[6:7], v[60:61], v[6:7]
	;; [unrolled: 3-line block ×14, first 2 shown]
	v_fma_f64 v[54:55], v[56:57], v[0:1], v[136:137]
	v_fma_f64 v[56:57], v[58:59], v[0:1], -v[2:3]
	v_fma_f64 v[0:1], v[60:61], v[4:5], v[138:139]
	v_fma_f64 v[2:3], v[62:63], v[4:5], -v[6:7]
	s_wait_loadcnt 0x4
	v_mul_f64_e32 v[166:167], v[114:115], v[118:119]
	v_mul_f64_e32 v[118:119], v[112:113], v[118:119]
	s_wait_loadcnt 0x2
	v_mul_f64_e32 v[168:169], v[126:127], v[122:123]
	v_mul_f64_e32 v[122:123], v[124:125], v[122:123]
	;; [unrolled: 3-line block ×3, first 2 shown]
	v_fma_f64 v[4:5], v[64:65], v[8:9], v[140:141]
	v_fma_f64 v[6:7], v[66:67], v[8:9], -v[10:11]
	v_fma_f64 v[8:9], v[68:69], v[12:13], v[142:143]
	v_fma_f64 v[10:11], v[70:71], v[12:13], -v[14:15]
	;; [unrolled: 2-line block ×15, first 2 shown]
	ds_store_b128 v241, v[54:57]
	ds_store_b128 v241, v[0:3] offset:1568
	ds_store_b128 v241, v[4:7] offset:3136
	;; [unrolled: 1-line block ×16, first 2 shown]
.LBB0_3:
	s_or_b32 exec_lo, exec_lo, s3
	s_clause 0x1
	s_load_b64 s[2:3], s[0:1], 0x20
	s_load_b64 s[4:5], s[0:1], 0x8
	global_wb scope:SCOPE_SE
	s_wait_dscnt 0x0
	s_wait_kmcnt 0x0
	s_barrier_signal -1
	s_barrier_wait -1
	global_inv scope:SCOPE_SE
                                        ; implicit-def: $vgpr12_vgpr13
                                        ; implicit-def: $vgpr32_vgpr33
                                        ; implicit-def: $vgpr36_vgpr37
                                        ; implicit-def: $vgpr40_vgpr41
                                        ; implicit-def: $vgpr44_vgpr45
                                        ; implicit-def: $vgpr52_vgpr53
                                        ; implicit-def: $vgpr56_vgpr57
                                        ; implicit-def: $vgpr64_vgpr65
                                        ; implicit-def: $vgpr72_vgpr73
                                        ; implicit-def: $vgpr76_vgpr77
                                        ; implicit-def: $vgpr68_vgpr69
                                        ; implicit-def: $vgpr60_vgpr61
                                        ; implicit-def: $vgpr48_vgpr49
                                        ; implicit-def: $vgpr28_vgpr29
                                        ; implicit-def: $vgpr24_vgpr25
                                        ; implicit-def: $vgpr20_vgpr21
                                        ; implicit-def: $vgpr16_vgpr17
	s_and_saveexec_b32 s0, vcc_lo
	s_cbranch_execz .LBB0_5
; %bb.4:
	ds_load_b128 v[12:15], v241
	ds_load_b128 v[32:35], v241 offset:1568
	ds_load_b128 v[36:39], v241 offset:3136
	;; [unrolled: 1-line block ×16, first 2 shown]
.LBB0_5:
	s_wait_alu 0xfffe
	s_or_b32 exec_lo, exec_lo, s0
	s_wait_dscnt 0x0
	v_add_f64_e64 v[164:165], v[34:35], -v[18:19]
	s_mov_b32 s0, 0x5d8e7cdc
	s_mov_b32 s1, 0xbfd71e95
	v_add_f64_e32 v[156:157], v[32:33], v[16:17]
	v_add_f64_e64 v[94:95], v[38:39], -v[22:23]
	s_mov_b32 s6, 0x2a9d6da3
	s_mov_b32 s14, 0x370991
	;; [unrolled: 1-line block ×4, first 2 shown]
	v_add_f64_e32 v[80:81], v[36:37], v[20:21]
	v_add_f64_e64 v[174:175], v[32:33], -v[16:17]
	s_mov_b32 s10, 0x75d4884
	s_mov_b32 s11, 0x3fe7a5f6
	v_add_f64_e32 v[170:171], v[34:35], v[18:19]
	v_add_f64_e64 v[92:93], v[36:37], -v[20:21]
	v_add_f64_e32 v[84:85], v[38:39], v[22:23]
	v_add_f64_e64 v[110:111], v[42:43], -v[26:27]
	s_mov_b32 s18, 0x7c9e640b
	s_mov_b32 s19, 0xbfeca52d
	v_add_f64_e32 v[88:89], v[40:41], v[24:25]
	v_add_f64_e64 v[104:105], v[40:41], -v[24:25]
	s_mov_b32 s16, 0x2b2883cd
	s_mov_b32 s17, 0x3fdc86fa
	;; [unrolled: 4-line block ×5, first 2 shown]
	s_mov_b32 s27, 0xbfeec746
	s_mov_b32 s26, s38
	v_add_f64_e32 v[106:107], v[52:53], v[48:49]
	s_wait_alu 0xfffe
	v_mul_f64_e32 v[158:159], s[0:1], v[164:165]
	v_add_f64_e64 v[136:137], v[52:53], -v[48:49]
	s_mov_b32 s24, 0xc61f0d01
	s_mov_b32 s25, 0xbfd183b1
	v_mul_f64_e32 v[82:83], s[6:7], v[94:95]
	v_add_f64_e32 v[122:123], v[54:55], v[50:51]
	v_add_f64_e64 v[160:161], v[58:59], -v[62:63]
	s_mov_b32 s34, 0x6c9a05f6
	s_mov_b32 s35, 0xbfe9895b
	v_add_f64_e32 v[118:119], v[56:57], v[60:61]
	v_mul_f64_e32 v[172:173], s[0:1], v[174:175]
	v_add_f64_e64 v[152:153], v[56:57], -v[60:61]
	s_mov_b32 s28, 0x6ed5f1bb
	s_mov_b32 s29, 0xbfe348c8
	v_mul_f64_e32 v[86:87], s[6:7], v[92:93]
	v_add_f64_e32 v[132:133], v[58:59], v[62:63]
	v_mul_f64_e32 v[90:91], s[18:19], v[110:111]
	v_add_f64_e64 v[166:167], v[66:67], -v[70:71]
	s_mov_b32 s40, 0x4363dd80
	s_mov_b32 s41, 0x3fe0d888
	v_mul_f64_e32 v[98:99], s[18:19], v[104:105]
	s_mov_b32 s45, 0xbfe0d888
	s_mov_b32 s44, s40
	v_add_f64_e32 v[128:129], v[64:65], v[68:69]
	v_mul_f64_e32 v[102:103], s[22:23], v[126:127]
	v_add_f64_e64 v[154:155], v[64:65], -v[68:69]
	s_mov_b32 s30, 0x910ea3b9
	s_mov_b32 s31, 0xbfeb34fa
	v_mul_f64_e32 v[114:115], s[22:23], v[116:117]
	v_add_f64_e32 v[142:143], v[66:67], v[70:71]
	v_add_f64_e64 v[168:169], v[74:75], -v[78:79]
	s_mov_b32 s42, 0xacd6c6b4
	v_mul_f64_e32 v[108:109], s[26:27], v[146:147]
	s_mov_b32 s43, 0x3fc7851a
	s_mov_b32 s49, 0xbfc7851a
	;; [unrolled: 1-line block ×3, first 2 shown]
	v_add_f64_e32 v[138:139], v[72:73], v[76:77]
	v_add_f64_e64 v[162:163], v[72:73], -v[76:77]
	v_fma_f64 v[0:1], v[156:157], s[14:15], v[158:159]
	v_mul_f64_e32 v[124:125], s[26:27], v[136:137]
	s_mov_b32 s36, 0x7faef3
	s_mov_b32 s37, 0xbfef7484
	v_fma_f64 v[2:3], v[80:81], s[10:11], v[82:83]
	v_add_f64_e32 v[148:149], v[74:75], v[78:79]
	v_mul_f64_e32 v[120:121], s[34:35], v[160:161]
	v_mul_f64_e32 v[233:234], s[6:7], v[164:165]
	;; [unrolled: 1-line block ×8, first 2 shown]
	v_fma_f64 v[4:5], v[84:85], s[10:11], -v[86:87]
	v_mul_f64_e32 v[186:187], s[48:49], v[126:127]
	v_mul_f64_e32 v[211:212], s[48:49], v[116:117]
	;; [unrolled: 1-line block ×7, first 2 shown]
	s_mov_b32 s47, 0x3feca52d
	s_mov_b32 s46, s18
	;; [unrolled: 1-line block ×3, first 2 shown]
	v_mul_f64_e32 v[144:145], s[44:45], v[154:155]
	v_mul_f64_e32 v[192:193], s[46:47], v[166:167]
	v_mul_f64_e32 v[203:204], s[46:47], v[154:155]
	s_mov_b32 s50, s0
	v_mul_f64_e32 v[237:238], s[18:19], v[164:165]
	v_mul_f64_e32 v[140:141], s[48:49], v[168:169]
	;; [unrolled: 1-line block ×9, first 2 shown]
	v_add_f64_e32 v[0:1], v[12:13], v[0:1]
	v_mul_f64_e32 v[205:206], s[50:51], v[162:163]
	v_mul_f64_e32 v[207:208], s[38:39], v[126:127]
	;; [unrolled: 1-line block ×3, first 2 shown]
	s_mov_b32 s53, 0x3fe58eea
	s_mov_b32 s52, s6
	v_mul_f64_e32 v[217:218], s[0:1], v[160:161]
	v_mul_f64_e32 v[225:226], s[52:53], v[146:147]
	;; [unrolled: 1-line block ×8, first 2 shown]
	v_add_f64_e32 v[0:1], v[2:3], v[0:1]
	v_fma_f64 v[2:3], v[170:171], s[14:15], -v[172:173]
	s_delay_alu instid0(VALU_DEP_1) | instskip(NEXT) | instid1(VALU_DEP_1)
	v_add_f64_e32 v[2:3], v[14:15], v[2:3]
	v_add_f64_e32 v[2:3], v[4:5], v[2:3]
	v_fma_f64 v[4:5], v[88:89], s[16:17], v[90:91]
	s_delay_alu instid0(VALU_DEP_1) | instskip(SKIP_1) | instid1(VALU_DEP_1)
	v_add_f64_e32 v[0:1], v[4:5], v[0:1]
	v_fma_f64 v[4:5], v[96:97], s[16:17], -v[98:99]
	v_add_f64_e32 v[2:3], v[4:5], v[2:3]
	v_fma_f64 v[4:5], v[100:101], s[20:21], v[102:103]
	s_delay_alu instid0(VALU_DEP_1) | instskip(SKIP_1) | instid1(VALU_DEP_1)
	v_add_f64_e32 v[0:1], v[4:5], v[0:1]
	v_fma_f64 v[4:5], v[112:113], s[20:21], -v[114:115]
	;; [unrolled: 5-line block ×5, first 2 shown]
	v_add_f64_e32 v[2:3], v[4:5], v[2:3]
	v_fma_f64 v[4:5], v[138:139], s[36:37], v[140:141]
	s_delay_alu instid0(VALU_DEP_1) | instskip(SKIP_2) | instid1(VALU_DEP_2)
	v_add_f64_e32 v[244:245], v[4:5], v[0:1]
	v_fma_f64 v[0:1], v[148:149], s[36:37], -v[150:151]
	v_fma_f64 v[4:5], v[84:85], s[20:21], -v[182:183]
	v_add_f64_e32 v[246:247], v[0:1], v[2:3]
	v_fma_f64 v[0:1], v[156:157], s[10:11], v[233:234]
	v_fma_f64 v[2:3], v[80:81], s[20:21], v[176:177]
	s_delay_alu instid0(VALU_DEP_2) | instskip(NEXT) | instid1(VALU_DEP_1)
	v_add_f64_e32 v[0:1], v[12:13], v[0:1]
	v_add_f64_e32 v[0:1], v[2:3], v[0:1]
	v_fma_f64 v[2:3], v[170:171], s[10:11], -v[235:236]
	s_delay_alu instid0(VALU_DEP_1) | instskip(NEXT) | instid1(VALU_DEP_1)
	v_add_f64_e32 v[2:3], v[14:15], v[2:3]
	v_add_f64_e32 v[2:3], v[4:5], v[2:3]
	v_fma_f64 v[4:5], v[88:89], s[28:29], v[180:181]
	s_delay_alu instid0(VALU_DEP_1) | instskip(SKIP_1) | instid1(VALU_DEP_1)
	v_add_f64_e32 v[0:1], v[4:5], v[0:1]
	v_fma_f64 v[4:5], v[96:97], s[28:29], -v[196:197]
	v_add_f64_e32 v[2:3], v[4:5], v[2:3]
	v_fma_f64 v[4:5], v[100:101], s[36:37], v[186:187]
	s_delay_alu instid0(VALU_DEP_1) | instskip(SKIP_1) | instid1(VALU_DEP_1)
	v_add_f64_e32 v[0:1], v[4:5], v[0:1]
	v_fma_f64 v[4:5], v[112:113], s[36:37], -v[211:212]
	;; [unrolled: 5-line block ×5, first 2 shown]
	v_add_f64_e32 v[2:3], v[4:5], v[2:3]
	v_fma_f64 v[4:5], v[138:139], s[14:15], v[194:195]
	s_delay_alu instid0(VALU_DEP_1) | instskip(SKIP_2) | instid1(VALU_DEP_2)
	v_add_f64_e32 v[248:249], v[4:5], v[0:1]
	v_fma_f64 v[0:1], v[148:149], s[14:15], -v[205:206]
	v_fma_f64 v[4:5], v[84:85], s[28:29], -v[198:199]
	v_add_f64_e32 v[250:251], v[0:1], v[2:3]
	v_fma_f64 v[0:1], v[156:157], s[16:17], v[237:238]
	v_fma_f64 v[2:3], v[80:81], s[28:29], v[178:179]
	s_delay_alu instid0(VALU_DEP_2) | instskip(NEXT) | instid1(VALU_DEP_1)
	v_add_f64_e32 v[0:1], v[12:13], v[0:1]
	v_add_f64_e32 v[0:1], v[2:3], v[0:1]
	v_fma_f64 v[2:3], v[170:171], s[16:17], -v[239:240]
	s_delay_alu instid0(VALU_DEP_1) | instskip(NEXT) | instid1(VALU_DEP_1)
	v_add_f64_e32 v[2:3], v[14:15], v[2:3]
	v_add_f64_e32 v[2:3], v[4:5], v[2:3]
	v_fma_f64 v[4:5], v[88:89], s[36:37], v[184:185]
	s_delay_alu instid0(VALU_DEP_1) | instskip(SKIP_1) | instid1(VALU_DEP_1)
	v_add_f64_e32 v[0:1], v[4:5], v[0:1]
	v_fma_f64 v[4:5], v[96:97], s[36:37], -v[215:216]
	v_add_f64_e32 v[2:3], v[4:5], v[2:3]
	v_fma_f64 v[4:5], v[100:101], s[24:25], v[207:208]
	s_delay_alu instid0(VALU_DEP_1) | instskip(SKIP_1) | instid1(VALU_DEP_1)
	v_add_f64_e32 v[0:1], v[4:5], v[0:1]
	v_fma_f64 v[4:5], v[112:113], s[24:25], -v[227:228]
	;; [unrolled: 5-line block ×6, first 2 shown]
	v_add_f64_e32 v[6:7], v[0:1], v[2:3]
	scratch_store_b128 off, v[4:7], off     ; 16-byte Folded Spill
	global_wb scope:SCOPE_SE
	s_wait_storecnt 0x0
	s_barrier_signal -1
	s_barrier_wait -1
	global_inv scope:SCOPE_SE
	s_and_saveexec_b32 s33, vcc_lo
	s_cbranch_execz .LBB0_7
; %bb.6:
	v_add_f64_e32 v[0:1], v[14:15], v[34:35]
	v_add_f64_e32 v[2:3], v[12:13], v[32:33]
	v_mul_f64_e32 v[34:35], s[10:11], v[156:157]
	s_mov_b32 s57, 0x3fefdd0d
	s_mov_b32 s56, s22
	v_mul_f64_e32 v[4:5], s[30:31], v[170:171]
	v_mul_f64_e32 v[8:9], s[28:29], v[170:171]
	;; [unrolled: 1-line block ×3, first 2 shown]
	s_mov_b32 s55, 0x3fe9895b
	s_mov_b32 s54, s34
	v_add_f64_e32 v[0:1], v[0:1], v[38:39]
	v_add_f64_e32 v[2:3], v[2:3], v[36:37]
	v_mul_f64_e32 v[38:39], s[48:49], v[164:165]
	v_add_f64_e64 v[34:35], v[34:35], -v[233:234]
	v_mul_f64_e32 v[36:37], s[14:15], v[170:171]
	v_fma_f64 v[6:7], v[174:175], s[40:41], v[4:5]
	v_fma_f64 v[4:5], v[174:175], s[44:45], v[4:5]
	;; [unrolled: 1-line block ×4, first 2 shown]
	v_add_f64_e32 v[32:33], v[235:236], v[32:33]
	v_add_f64_e32 v[0:1], v[0:1], v[42:43]
	;; [unrolled: 1-line block ×3, first 2 shown]
	v_mul_f64_e32 v[40:41], s[44:45], v[164:165]
	v_mul_f64_e32 v[42:43], s[34:35], v[164:165]
	v_add_f64_e32 v[36:37], v[172:173], v[36:37]
	v_add_f64_e32 v[34:35], v[12:13], v[34:35]
	;; [unrolled: 1-line block ×7, first 2 shown]
	v_mul_f64_e32 v[172:173], s[44:45], v[160:161]
	v_add_f64_e32 v[0:1], v[0:1], v[46:47]
	v_add_f64_e32 v[2:3], v[2:3], v[44:45]
	v_mul_f64_e32 v[44:45], s[26:27], v[164:165]
	v_mul_f64_e32 v[46:47], s[22:23], v[164:165]
	s_delay_alu instid0(VALU_DEP_4) | instskip(NEXT) | instid1(VALU_DEP_4)
	v_add_f64_e32 v[0:1], v[0:1], v[54:55]
	v_add_f64_e32 v[2:3], v[2:3], v[52:53]
	s_delay_alu instid0(VALU_DEP_4)
	v_fma_f64 v[54:55], v[156:157], s[24:25], v[44:45]
	v_fma_f64 v[52:53], v[156:157], s[28:29], v[42:43]
	v_fma_f64 v[42:43], v[156:157], s[28:29], -v[42:43]
	v_fma_f64 v[44:45], v[156:157], s[24:25], -v[44:45]
	v_add_f64_e32 v[0:1], v[0:1], v[58:59]
	v_add_f64_e32 v[2:3], v[2:3], v[56:57]
	v_mul_f64_e32 v[58:59], s[14:15], v[156:157]
	v_fma_f64 v[56:57], v[156:157], s[20:21], v[46:47]
	v_fma_f64 v[46:47], v[156:157], s[20:21], -v[46:47]
	v_add_f64_e32 v[52:53], v[12:13], v[52:53]
	v_add_f64_e32 v[44:45], v[12:13], v[44:45]
	;; [unrolled: 1-line block ×4, first 2 shown]
	v_add_f64_e64 v[58:59], v[58:59], -v[158:159]
	v_add_f64_e32 v[64:65], v[12:13], v[54:55]
	v_add_f64_e32 v[46:47], v[12:13], v[46:47]
	v_mul_f64_e32 v[158:159], s[20:21], v[148:149]
	v_add_f64_e32 v[0:1], v[0:1], v[74:75]
	v_add_f64_e32 v[2:3], v[2:3], v[72:73]
	;; [unrolled: 1-line block ×4, first 2 shown]
	v_mul_f64_e32 v[36:37], s[28:29], v[122:123]
	v_mul_f64_e32 v[58:59], s[16:17], v[132:133]
	v_add_f64_e32 v[0:1], v[0:1], v[78:79]
	v_add_f64_e32 v[2:3], v[2:3], v[76:77]
	v_mul_f64_e32 v[76:77], s[46:47], v[160:161]
	v_mul_f64_e32 v[78:79], s[24:25], v[142:143]
	s_delay_alu instid0(VALU_DEP_4) | instskip(NEXT) | instid1(VALU_DEP_4)
	v_add_f64_e32 v[0:1], v[0:1], v[70:71]
	v_add_f64_e32 v[2:3], v[2:3], v[68:69]
	v_add_f64_e32 v[68:69], v[12:13], v[56:57]
	s_delay_alu instid0(VALU_DEP_3) | instskip(NEXT) | instid1(VALU_DEP_3)
	v_add_f64_e32 v[0:1], v[0:1], v[62:63]
	v_add_f64_e32 v[2:3], v[2:3], v[60:61]
	;; [unrolled: 1-line block ×3, first 2 shown]
	s_delay_alu instid0(VALU_DEP_3) | instskip(NEXT) | instid1(VALU_DEP_3)
	v_add_f64_e32 v[0:1], v[0:1], v[50:51]
	v_add_f64_e32 v[2:3], v[2:3], v[48:49]
	v_fma_f64 v[48:49], v[156:157], s[36:37], v[38:39]
	v_fma_f64 v[38:39], v[156:157], s[36:37], -v[38:39]
	v_fma_f64 v[50:51], v[156:157], s[30:31], v[40:41]
	v_fma_f64 v[40:41], v[156:157], s[30:31], -v[40:41]
	v_add_f64_e32 v[0:1], v[0:1], v[30:31]
	v_add_f64_e32 v[2:3], v[2:3], v[28:29]
	v_mul_f64_e32 v[30:31], s[16:17], v[156:157]
	v_mul_f64_e32 v[28:29], s[16:17], v[170:171]
	v_add_f64_e32 v[48:49], v[12:13], v[48:49]
	v_add_f64_e32 v[38:39], v[12:13], v[38:39]
	;; [unrolled: 1-line block ×4, first 2 shown]
	v_mul_f64_e32 v[156:157], s[26:27], v[166:167]
	v_add_f64_e32 v[0:1], v[0:1], v[26:27]
	v_add_f64_e32 v[2:3], v[2:3], v[24:25]
	v_mul_f64_e32 v[24:25], s[20:21], v[170:171]
	v_add_f64_e64 v[30:31], v[30:31], -v[237:238]
	v_add_f64_e32 v[28:29], v[239:240], v[28:29]
	v_add_f64_e32 v[0:1], v[0:1], v[22:23]
	;; [unrolled: 1-line block ×3, first 2 shown]
	v_mul_f64_e32 v[20:21], s[24:25], v[170:171]
	v_fma_f64 v[26:27], v[174:175], s[56:57], v[24:25]
	v_fma_f64 v[24:25], v[174:175], s[22:23], v[24:25]
	v_add_f64_e32 v[70:71], v[12:13], v[30:31]
	v_add_f64_e32 v[56:57], v[14:15], v[28:29]
	v_mul_f64_e32 v[28:29], s[10:11], v[112:113]
	v_mul_f64_e32 v[30:31], s[52:53], v[126:127]
	v_add_f64_e32 v[18:19], v[0:1], v[18:19]
	v_mul_f64_e32 v[0:1], s[36:37], v[170:171]
	v_fma_f64 v[22:23], v[174:175], s[38:39], v[20:21]
	v_fma_f64 v[20:21], v[174:175], s[26:27], v[20:21]
	v_add_f64_e32 v[16:17], v[2:3], v[16:17]
	v_add_f64_e32 v[42:43], v[14:15], v[24:25]
	v_mul_f64_e32 v[24:25], s[30:31], v[96:97]
	v_add_f64_e32 v[66:67], v[14:15], v[26:27]
	v_mul_f64_e32 v[26:27], s[44:45], v[110:111]
	v_mul_f64_e32 v[170:171], s[30:31], v[132:133]
	v_fma_f64 v[2:3], v[174:175], s[42:43], v[0:1]
	v_fma_f64 v[0:1], v[174:175], s[48:49], v[0:1]
	v_add_f64_e32 v[54:55], v[14:15], v[20:21]
	v_mul_f64_e32 v[20:21], s[14:15], v[84:85]
	v_add_f64_e32 v[62:63], v[14:15], v[22:23]
	v_mul_f64_e32 v[22:23], s[50:51], v[94:95]
	v_mul_f64_e32 v[174:175], s[28:29], v[142:143]
	v_add_f64_e32 v[2:3], v[14:15], v[2:3]
	v_add_f64_e32 v[0:1], v[14:15], v[0:1]
	v_fma_f64 v[14:15], v[104:105], s[40:41], v[24:25]
	v_fma_f64 v[12:13], v[92:93], s[0:1], v[20:21]
	;; [unrolled: 1-line block ×3, first 2 shown]
	s_delay_alu instid0(VALU_DEP_2) | instskip(SKIP_1) | instid1(VALU_DEP_3)
	v_add_f64_e32 v[2:3], v[12:13], v[2:3]
	v_fma_f64 v[12:13], v[80:81], s[14:15], v[22:23]
	v_add_f64_e32 v[0:1], v[20:21], v[0:1]
	v_fma_f64 v[20:21], v[80:81], s[14:15], -v[22:23]
	v_fma_f64 v[22:23], v[104:105], s[44:45], v[24:25]
	v_add_f64_e32 v[2:3], v[14:15], v[2:3]
	v_add_f64_e32 v[12:13], v[12:13], v[48:49]
	v_fma_f64 v[14:15], v[88:89], s[30:31], v[26:27]
	v_add_f64_e32 v[20:21], v[20:21], v[38:39]
	v_add_f64_e32 v[0:1], v[22:23], v[0:1]
	v_fma_f64 v[22:23], v[88:89], s[30:31], -v[26:27]
	v_mul_f64_e32 v[48:49], s[34:35], v[146:147]
	v_mul_f64_e32 v[38:39], s[54:55], v[126:127]
	v_add_f64_e32 v[12:13], v[14:15], v[12:13]
	v_fma_f64 v[14:15], v[116:117], s[6:7], v[28:29]
	v_add_f64_e32 v[20:21], v[22:23], v[20:21]
	v_fma_f64 v[22:23], v[116:117], s[52:53], v[28:29]
	v_mul_f64_e32 v[28:29], s[20:21], v[96:97]
	s_delay_alu instid0(VALU_DEP_4) | instskip(SKIP_1) | instid1(VALU_DEP_4)
	v_add_f64_e32 v[2:3], v[14:15], v[2:3]
	v_fma_f64 v[14:15], v[100:101], s[10:11], v[30:31]
	v_add_f64_e32 v[0:1], v[22:23], v[0:1]
	v_fma_f64 v[22:23], v[100:101], s[10:11], -v[30:31]
	v_fma_f64 v[26:27], v[104:105], s[56:57], v[28:29]
	v_mul_f64_e32 v[30:31], s[22:23], v[110:111]
	v_add_f64_e32 v[12:13], v[14:15], v[12:13]
	v_fma_f64 v[14:15], v[136:137], s[54:55], v[36:37]
	v_add_f64_e32 v[20:21], v[22:23], v[20:21]
	v_fma_f64 v[22:23], v[136:137], s[34:35], v[36:37]
	v_mul_f64_e32 v[36:37], s[28:29], v[112:113]
	s_delay_alu instid0(VALU_DEP_4) | instskip(SKIP_1) | instid1(VALU_DEP_4)
	v_add_f64_e32 v[2:3], v[14:15], v[2:3]
	v_fma_f64 v[14:15], v[106:107], s[28:29], v[48:49]
	v_add_f64_e32 v[0:1], v[22:23], v[0:1]
	v_fma_f64 v[22:23], v[106:107], s[28:29], -v[48:49]
	v_mul_f64_e32 v[48:49], s[14:15], v[122:123]
	s_delay_alu instid0(VALU_DEP_4) | instskip(SKIP_1) | instid1(VALU_DEP_4)
	v_add_f64_e32 v[12:13], v[14:15], v[12:13]
	v_fma_f64 v[14:15], v[152:153], s[18:19], v[58:59]
	v_add_f64_e32 v[20:21], v[22:23], v[20:21]
	v_fma_f64 v[22:23], v[152:153], s[46:47], v[58:59]
	v_mul_f64_e32 v[58:59], s[36:37], v[132:133]
	s_delay_alu instid0(VALU_DEP_4) | instskip(SKIP_1) | instid1(VALU_DEP_4)
	v_add_f64_e32 v[2:3], v[14:15], v[2:3]
	v_fma_f64 v[14:15], v[118:119], s[16:17], v[76:77]
	v_add_f64_e32 v[0:1], v[22:23], v[0:1]
	v_fma_f64 v[22:23], v[118:119], s[16:17], -v[76:77]
	v_mul_f64_e32 v[76:77], s[48:49], v[160:161]
	s_delay_alu instid0(VALU_DEP_4) | instskip(SKIP_1) | instid1(VALU_DEP_4)
	;; [unrolled: 12-line block ×3, first 2 shown]
	v_add_f64_e32 v[12:13], v[14:15], v[12:13]
	v_fma_f64 v[14:15], v[162:163], s[22:23], v[158:159]
	v_add_f64_e32 v[20:21], v[22:23], v[20:21]
	v_fma_f64 v[22:23], v[162:163], s[56:57], v[158:159]
	v_mul_f64_e32 v[158:159], s[24:25], v[148:149]
	s_delay_alu instid0(VALU_DEP_4) | instskip(SKIP_1) | instid1(VALU_DEP_4)
	v_add_f64_e32 v[14:15], v[14:15], v[2:3]
	v_mul_f64_e32 v[2:3], s[56:57], v[168:169]
	v_add_f64_e32 v[22:23], v[22:23], v[0:1]
	v_mul_f64_e32 v[0:1], s[16:17], v[84:85]
	s_delay_alu instid0(VALU_DEP_3) | instskip(SKIP_1) | instid1(VALU_DEP_2)
	v_fma_f64 v[164:165], v[138:139], s[20:21], v[2:3]
	v_fma_f64 v[2:3], v[138:139], s[20:21], -v[2:3]
	v_add_f64_e32 v[12:13], v[164:165], v[12:13]
	s_delay_alu instid0(VALU_DEP_2) | instskip(SKIP_2) | instid1(VALU_DEP_2)
	v_add_f64_e32 v[20:21], v[2:3], v[20:21]
	v_fma_f64 v[2:3], v[92:93], s[18:19], v[0:1]
	v_fma_f64 v[0:1], v[92:93], s[46:47], v[0:1]
	v_add_f64_e32 v[2:3], v[2:3], v[6:7]
	v_mul_f64_e32 v[6:7], s[46:47], v[94:95]
	s_delay_alu instid0(VALU_DEP_3) | instskip(NEXT) | instid1(VALU_DEP_3)
	v_add_f64_e32 v[0:1], v[0:1], v[4:5]
	v_add_f64_e32 v[2:3], v[26:27], v[2:3]
	s_delay_alu instid0(VALU_DEP_3) | instskip(SKIP_3) | instid1(VALU_DEP_4)
	v_fma_f64 v[24:25], v[80:81], s[16:17], v[6:7]
	v_fma_f64 v[26:27], v[88:89], s[20:21], v[30:31]
	v_fma_f64 v[4:5], v[80:81], s[16:17], -v[6:7]
	v_fma_f64 v[6:7], v[104:105], s[22:23], v[28:29]
	v_add_f64_e32 v[24:25], v[24:25], v[50:51]
	v_mul_f64_e32 v[50:51], s[0:1], v[146:147]
	s_delay_alu instid0(VALU_DEP_4) | instskip(NEXT) | instid1(VALU_DEP_4)
	v_add_f64_e32 v[4:5], v[4:5], v[40:41]
	v_add_f64_e32 v[0:1], v[6:7], v[0:1]
	v_fma_f64 v[6:7], v[88:89], s[20:21], -v[30:31]
	v_mul_f64_e32 v[40:41], s[20:21], v[80:81]
	v_add_f64_e32 v[24:25], v[26:27], v[24:25]
	v_fma_f64 v[26:27], v[116:117], s[34:35], v[36:37]
	s_delay_alu instid0(VALU_DEP_4)
	v_add_f64_e32 v[4:5], v[6:7], v[4:5]
	v_fma_f64 v[6:7], v[116:117], s[54:55], v[36:37]
	v_add_f64_e64 v[40:41], v[40:41], -v[176:177]
	v_mul_f64_e32 v[36:37], s[36:37], v[100:101]
	v_mul_f64_e32 v[176:177], s[54:55], v[166:167]
	v_add_f64_e32 v[2:3], v[26:27], v[2:3]
	v_fma_f64 v[26:27], v[100:101], s[28:29], v[38:39]
	v_add_f64_e32 v[0:1], v[6:7], v[0:1]
	v_fma_f64 v[6:7], v[100:101], s[28:29], -v[38:39]
	v_mul_f64_e32 v[38:39], s[28:29], v[88:89]
	v_add_f64_e64 v[36:37], v[36:37], -v[186:187]
	v_mul_f64_e32 v[186:187], s[36:37], v[122:123]
	v_add_f64_e32 v[24:25], v[26:27], v[24:25]
	v_fma_f64 v[26:27], v[136:137], s[50:51], v[48:49]
	v_add_f64_e32 v[4:5], v[6:7], v[4:5]
	v_fma_f64 v[6:7], v[136:137], s[0:1], v[48:49]
	v_add_f64_e64 v[38:39], v[38:39], -v[180:181]
	v_mul_f64_e32 v[48:49], s[30:31], v[106:107]
	v_mul_f64_e32 v[180:181], s[52:53], v[110:111]
	v_add_f64_e32 v[2:3], v[26:27], v[2:3]
	v_fma_f64 v[26:27], v[106:107], s[14:15], v[50:51]
	v_add_f64_e32 v[0:1], v[6:7], v[0:1]
	v_fma_f64 v[6:7], v[106:107], s[14:15], -v[50:51]
	v_add_f64_e64 v[48:49], v[48:49], -v[188:189]
	v_mul_f64_e32 v[50:51], s[24:25], v[132:133]
	v_mul_f64_e32 v[188:189], s[48:49], v[146:147]
	v_add_f64_e32 v[24:25], v[26:27], v[24:25]
	v_fma_f64 v[26:27], v[152:153], s[42:43], v[58:59]
	v_add_f64_e32 v[4:5], v[6:7], v[4:5]
	v_fma_f64 v[6:7], v[152:153], s[48:49], v[58:59]
	v_add_f64_e32 v[50:51], v[201:202], v[50:51]
	v_mul_f64_e32 v[58:59], s[10:11], v[96:97]
	v_mul_f64_e32 v[200:201], s[34:35], v[168:169]
	v_add_f64_e32 v[2:3], v[26:27], v[2:3]
	v_fma_f64 v[26:27], v[118:119], s[36:37], v[76:77]
	v_add_f64_e32 v[0:1], v[6:7], v[0:1]
	v_fma_f64 v[6:7], v[118:119], s[36:37], -v[76:77]
	v_mul_f64_e32 v[76:77], s[38:39], v[110:111]
	v_mul_f64_e32 v[110:111], s[0:1], v[110:111]
	v_add_f64_e32 v[24:25], v[26:27], v[24:25]
	v_fma_f64 v[26:27], v[154:155], s[6:7], v[78:79]
	v_add_f64_e32 v[4:5], v[6:7], v[4:5]
	v_fma_f64 v[6:7], v[154:155], s[52:53], v[78:79]
	v_mul_f64_e32 v[78:79], s[14:15], v[112:113]
	s_delay_alu instid0(VALU_DEP_4) | instskip(SKIP_1) | instid1(VALU_DEP_4)
	v_add_f64_e32 v[2:3], v[26:27], v[2:3]
	v_fma_f64 v[26:27], v[128:129], s[10:11], v[156:157]
	v_add_f64_e32 v[0:1], v[6:7], v[0:1]
	v_fma_f64 v[6:7], v[128:129], s[10:11], -v[156:157]
	v_mul_f64_e32 v[156:157], s[50:51], v[126:127]
	s_delay_alu instid0(VALU_DEP_4) | instskip(SKIP_1) | instid1(VALU_DEP_4)
	v_add_f64_e32 v[24:25], v[26:27], v[24:25]
	v_fma_f64 v[26:27], v[162:163], s[38:39], v[158:159]
	v_add_f64_e32 v[4:5], v[6:7], v[4:5]
	v_fma_f64 v[6:7], v[162:163], s[26:27], v[158:159]
	v_mul_f64_e32 v[158:159], s[16:17], v[122:123]
	s_delay_alu instid0(VALU_DEP_4) | instskip(SKIP_1) | instid1(VALU_DEP_4)
	v_add_f64_e32 v[26:27], v[26:27], v[2:3]
	v_mul_f64_e32 v[2:3], s[26:27], v[168:169]
	v_add_f64_e32 v[30:31], v[6:7], v[0:1]
	v_mul_f64_e32 v[6:7], s[20:21], v[84:85]
	v_mul_f64_e32 v[0:1], s[30:31], v[122:123]
	s_delay_alu instid0(VALU_DEP_4) | instskip(SKIP_1) | instid1(VALU_DEP_4)
	v_fma_f64 v[164:165], v[138:139], s[24:25], v[2:3]
	v_fma_f64 v[2:3], v[138:139], s[24:25], -v[2:3]
	v_add_f64_e32 v[6:7], v[182:183], v[6:7]
	s_delay_alu instid0(VALU_DEP_4)
	v_add_f64_e32 v[0:1], v[221:222], v[0:1]
	v_mul_f64_e32 v[182:183], s[16:17], v[112:113]
	v_add_f64_e32 v[24:25], v[164:165], v[24:25]
	v_add_f64_e32 v[28:29], v[2:3], v[4:5]
	v_mul_f64_e32 v[4:5], s[28:29], v[96:97]
	v_mul_f64_e32 v[2:3], s[36:37], v[112:113]
	v_add_f64_e32 v[6:7], v[6:7], v[32:33]
	v_add_f64_e32 v[32:33], v[40:41], v[34:35]
	v_mul_f64_e32 v[34:35], s[24:25], v[118:119]
	v_mul_f64_e32 v[40:41], s[36:37], v[88:89]
	;; [unrolled: 1-line block ×4, first 2 shown]
	v_add_f64_e32 v[4:5], v[196:197], v[4:5]
	v_add_f64_e32 v[2:3], v[211:212], v[2:3]
	v_mul_f64_e32 v[196:197], s[0:1], v[166:167]
	v_mul_f64_e32 v[166:167], s[48:49], v[166:167]
	v_add_f64_e64 v[34:35], v[34:35], -v[190:191]
	v_add_f64_e64 v[40:41], v[40:41], -v[184:185]
	v_mul_f64_e32 v[184:185], s[18:19], v[126:127]
	v_mul_f64_e32 v[190:191], s[20:21], v[132:133]
	;; [unrolled: 1-line block ×3, first 2 shown]
	v_add_f64_e32 v[4:5], v[4:5], v[6:7]
	v_add_f64_e32 v[6:7], v[38:39], v[32:33]
	v_mul_f64_e32 v[32:33], s[16:17], v[142:143]
	v_mul_f64_e32 v[38:39], s[24:25], v[100:101]
	s_delay_alu instid0(VALU_DEP_4) | instskip(NEXT) | instid1(VALU_DEP_4)
	v_add_f64_e32 v[2:3], v[2:3], v[4:5]
	v_add_f64_e32 v[4:5], v[36:37], v[6:7]
	v_mul_f64_e32 v[6:7], s[16:17], v[128:129]
	v_add_f64_e32 v[32:33], v[203:204], v[32:33]
	v_add_f64_e64 v[38:39], v[38:39], -v[207:208]
	v_mul_f64_e32 v[202:203], s[30:31], v[112:113]
	v_add_f64_e32 v[0:1], v[0:1], v[2:3]
	v_add_f64_e32 v[2:3], v[48:49], v[4:5]
	v_add_f64_e64 v[6:7], v[6:7], -v[192:193]
	v_mul_f64_e32 v[4:5], s[14:15], v[148:149]
	v_mul_f64_e32 v[48:49], s[28:29], v[80:81]
	;; [unrolled: 1-line block ×4, first 2 shown]
	v_add_f64_e32 v[0:1], v[50:51], v[0:1]
	v_add_f64_e32 v[2:3], v[34:35], v[2:3]
	v_mul_f64_e32 v[34:35], s[14:15], v[138:139]
	v_add_f64_e32 v[4:5], v[205:206], v[4:5]
	v_add_f64_e64 v[48:49], v[48:49], -v[178:179]
	v_mul_f64_e32 v[50:51], s[14:15], v[132:133]
	v_mul_f64_e32 v[178:179], s[10:11], v[148:149]
	v_mul_f64_e32 v[204:205], s[20:21], v[122:123]
	v_mul_f64_e32 v[206:207], s[10:11], v[132:133]
	v_add_f64_e32 v[0:1], v[32:33], v[0:1]
	v_add_f64_e32 v[2:3], v[6:7], v[2:3]
	v_mul_f64_e32 v[6:7], s[28:29], v[84:85]
	v_add_f64_e64 v[36:37], v[34:35], -v[194:195]
	v_add_f64_e32 v[48:49], v[48:49], v[70:71]
	v_add_f64_e32 v[50:51], v[229:230], v[50:51]
	v_mul_f64_e32 v[70:71], s[24:25], v[96:97]
	v_mul_f64_e32 v[194:195], s[14:15], v[142:143]
	v_add_f64_e32 v[34:35], v[4:5], v[0:1]
	v_mul_f64_e32 v[4:5], s[36:37], v[96:97]
	v_add_f64_e32 v[6:7], v[198:199], v[6:7]
	v_add_f64_e32 v[32:33], v[36:37], v[2:3]
	v_mul_f64_e32 v[2:3], s[24:25], v[112:113]
	v_mul_f64_e32 v[0:1], s[10:11], v[122:123]
	;; [unrolled: 1-line block ×4, first 2 shown]
	v_add_f64_e32 v[4:5], v[215:216], v[4:5]
	v_add_f64_e32 v[6:7], v[6:7], v[56:57]
	v_mul_f64_e32 v[56:57], s[14:15], v[118:119]
	v_add_f64_e32 v[2:3], v[227:228], v[2:3]
	v_add_f64_e32 v[0:1], v[231:232], v[0:1]
	v_add_f64_e64 v[36:37], v[36:37], -v[225:226]
	v_add_f64_e32 v[4:5], v[4:5], v[6:7]
	v_add_f64_e32 v[6:7], v[40:41], v[48:49]
	v_mul_f64_e32 v[40:41], s[20:21], v[142:143]
	v_add_f64_e64 v[56:57], v[56:57], -v[217:218]
	s_delay_alu instid0(VALU_DEP_4) | instskip(NEXT) | instid1(VALU_DEP_4)
	v_add_f64_e32 v[2:3], v[2:3], v[4:5]
	v_add_f64_e32 v[4:5], v[38:39], v[6:7]
	s_delay_alu instid0(VALU_DEP_4) | instskip(SKIP_1) | instid1(VALU_DEP_4)
	v_add_f64_e32 v[40:41], v[223:224], v[40:41]
	v_mul_f64_e32 v[6:7], s[20:21], v[128:129]
	v_add_f64_e32 v[0:1], v[0:1], v[2:3]
	s_delay_alu instid0(VALU_DEP_4) | instskip(SKIP_1) | instid1(VALU_DEP_4)
	v_add_f64_e32 v[2:3], v[36:37], v[4:5]
	v_mul_f64_e32 v[4:5], s[30:31], v[148:149]
	v_add_f64_e64 v[6:7], v[6:7], -v[213:214]
	v_mul_f64_e32 v[36:37], s[30:31], v[138:139]
	v_add_f64_e32 v[0:1], v[50:51], v[0:1]
	v_add_f64_e32 v[2:3], v[56:57], v[2:3]
	;; [unrolled: 1-line block ×3, first 2 shown]
	v_mul_f64_e32 v[56:57], s[40:41], v[94:95]
	v_add_f64_e64 v[36:37], v[36:37], -v[209:210]
	v_mul_f64_e32 v[208:209], s[36:37], v[142:143]
	v_mul_f64_e32 v[210:211], s[16:17], v[148:149]
	v_add_f64_e32 v[0:1], v[40:41], v[0:1]
	v_add_f64_e32 v[2:3], v[6:7], v[2:3]
	v_fma_f64 v[40:41], v[104:105], s[38:39], v[70:71]
	v_fma_f64 v[48:49], v[80:81], s[30:31], -v[56:57]
	s_delay_alu instid0(VALU_DEP_4)
	v_add_f64_e32 v[38:39], v[4:5], v[0:1]
	v_mul_f64_e32 v[0:1], s[36:37], v[84:85]
	v_add_f64_e32 v[36:37], v[36:37], v[2:3]
	v_mul_f64_e32 v[4:5], s[48:49], v[94:95]
	v_add_f64_e32 v[44:45], v[48:49], v[44:45]
	v_fma_f64 v[48:49], v[104:105], s[52:53], v[58:59]
	v_mul_f64_e32 v[94:95], s[38:39], v[94:95]
	v_fma_f64 v[2:3], v[92:93], s[48:49], v[0:1]
	v_fma_f64 v[0:1], v[92:93], s[42:43], v[0:1]
	v_fma_f64 v[6:7], v[80:81], s[36:37], -v[4:5]
	v_fma_f64 v[4:5], v[80:81], s[36:37], v[4:5]
	s_delay_alu instid0(VALU_DEP_4) | instskip(NEXT) | instid1(VALU_DEP_4)
	v_add_f64_e32 v[2:3], v[2:3], v[42:43]
	v_add_f64_e32 v[0:1], v[0:1], v[66:67]
	s_delay_alu instid0(VALU_DEP_4) | instskip(NEXT) | instid1(VALU_DEP_4)
	v_add_f64_e32 v[6:7], v[6:7], v[46:47]
	v_add_f64_e32 v[4:5], v[4:5], v[68:69]
	v_mul_f64_e32 v[66:67], s[24:25], v[106:107]
	v_mul_f64_e32 v[68:69], s[28:29], v[132:133]
	v_add_f64_e32 v[2:3], v[40:41], v[2:3]
	v_fma_f64 v[40:41], v[88:89], s[24:25], -v[76:77]
	s_delay_alu instid0(VALU_DEP_4) | instskip(NEXT) | instid1(VALU_DEP_4)
	v_add_f64_e64 v[66:67], v[66:67], -v[108:109]
	v_add_f64_e32 v[68:69], v[134:135], v[68:69]
	s_delay_alu instid0(VALU_DEP_3) | instskip(SKIP_1) | instid1(VALU_DEP_1)
	v_add_f64_e32 v[6:7], v[40:41], v[6:7]
	v_fma_f64 v[40:41], v[116:117], s[50:51], v[78:79]
	v_add_f64_e32 v[2:3], v[40:41], v[2:3]
	v_fma_f64 v[40:41], v[100:101], s[14:15], -v[156:157]
	s_delay_alu instid0(VALU_DEP_1) | instskip(SKIP_1) | instid1(VALU_DEP_1)
	v_add_f64_e32 v[6:7], v[40:41], v[6:7]
	v_fma_f64 v[40:41], v[136:137], s[18:19], v[158:159]
	v_add_f64_e32 v[2:3], v[40:41], v[2:3]
	v_fma_f64 v[40:41], v[106:107], s[16:17], -v[164:165]
	s_delay_alu instid0(VALU_DEP_1) | instskip(SKIP_1) | instid1(VALU_DEP_1)
	;; [unrolled: 5-line block ×4, first 2 shown]
	v_add_f64_e32 v[6:7], v[40:41], v[6:7]
	v_fma_f64 v[40:41], v[162:163], s[52:53], v[178:179]
	v_add_f64_e32 v[42:43], v[40:41], v[2:3]
	v_mul_f64_e32 v[2:3], s[52:53], v[168:169]
	v_mul_f64_e32 v[168:169], s[46:47], v[168:169]
	s_delay_alu instid0(VALU_DEP_2) | instskip(SKIP_1) | instid1(VALU_DEP_2)
	v_fma_f64 v[40:41], v[138:139], s[10:11], -v[2:3]
	v_fma_f64 v[2:3], v[138:139], s[10:11], v[2:3]
	v_add_f64_e32 v[40:41], v[40:41], v[6:7]
	v_mul_f64_e32 v[6:7], s[30:31], v[84:85]
	s_delay_alu instid0(VALU_DEP_1) | instskip(SKIP_1) | instid1(VALU_DEP_2)
	v_fma_f64 v[46:47], v[92:93], s[40:41], v[6:7]
	v_fma_f64 v[6:7], v[92:93], s[44:45], v[6:7]
	v_add_f64_e32 v[46:47], v[46:47], v[54:55]
	v_mul_f64_e32 v[54:55], s[24:25], v[84:85]
	s_delay_alu instid0(VALU_DEP_3) | instskip(SKIP_1) | instid1(VALU_DEP_4)
	v_add_f64_e32 v[6:7], v[6:7], v[62:63]
	v_fma_f64 v[62:63], v[154:155], s[34:35], v[174:175]
	v_add_f64_e32 v[46:47], v[48:49], v[46:47]
	v_fma_f64 v[48:49], v[88:89], s[10:11], -v[180:181]
	s_delay_alu instid0(VALU_DEP_1) | instskip(SKIP_1) | instid1(VALU_DEP_1)
	v_add_f64_e32 v[44:45], v[48:49], v[44:45]
	v_fma_f64 v[48:49], v[116:117], s[18:19], v[182:183]
	v_add_f64_e32 v[46:47], v[48:49], v[46:47]
	v_fma_f64 v[48:49], v[100:101], s[16:17], -v[184:185]
	s_delay_alu instid0(VALU_DEP_1) | instskip(SKIP_1) | instid1(VALU_DEP_1)
	;; [unrolled: 5-line block ×7, first 2 shown]
	v_add_f64_e32 v[48:49], v[48:49], v[60:61]
	v_mul_f64_e32 v[60:61], s[14:15], v[96:97]
	v_fma_f64 v[50:51], v[104:105], s[0:1], v[60:61]
	s_delay_alu instid0(VALU_DEP_1) | instskip(SKIP_1) | instid1(VALU_DEP_1)
	v_add_f64_e32 v[8:9], v[50:51], v[8:9]
	v_fma_f64 v[50:51], v[88:89], s[14:15], -v[110:111]
	v_add_f64_e32 v[48:49], v[50:51], v[48:49]
	v_fma_f64 v[50:51], v[116:117], s[44:45], v[202:203]
	s_delay_alu instid0(VALU_DEP_1) | instskip(SKIP_1) | instid1(VALU_DEP_1)
	v_add_f64_e32 v[8:9], v[50:51], v[8:9]
	v_fma_f64 v[50:51], v[100:101], s[30:31], -v[126:127]
	v_add_f64_e32 v[48:49], v[50:51], v[48:49]
	;; [unrolled: 5-line block ×6, first 2 shown]
	v_fma_f64 v[8:9], v[92:93], s[26:27], v[54:55]
	s_delay_alu instid0(VALU_DEP_1) | instskip(SKIP_1) | instid1(VALU_DEP_1)
	v_add_f64_e32 v[8:9], v[8:9], v[10:11]
	v_fma_f64 v[10:11], v[80:81], s[24:25], v[94:95]
	v_add_f64_e32 v[10:11], v[10:11], v[52:53]
	v_fma_f64 v[52:53], v[104:105], s[50:51], v[60:61]
	v_fma_f64 v[60:61], v[138:139], s[16:17], v[168:169]
	s_delay_alu instid0(VALU_DEP_2) | instskip(SKIP_1) | instid1(VALU_DEP_1)
	v_add_f64_e32 v[8:9], v[52:53], v[8:9]
	v_fma_f64 v[52:53], v[88:89], s[14:15], v[110:111]
	v_add_f64_e32 v[10:11], v[52:53], v[10:11]
	v_fma_f64 v[52:53], v[116:117], s[40:41], v[202:203]
	s_delay_alu instid0(VALU_DEP_1) | instskip(SKIP_1) | instid1(VALU_DEP_1)
	v_add_f64_e32 v[8:9], v[52:53], v[8:9]
	v_fma_f64 v[52:53], v[100:101], s[30:31], v[126:127]
	v_add_f64_e32 v[10:11], v[52:53], v[10:11]
	v_fma_f64 v[52:53], v[136:137], s[22:23], v[204:205]
	s_delay_alu instid0(VALU_DEP_1) | instskip(SKIP_1) | instid1(VALU_DEP_1)
	;; [unrolled: 5-line block ×4, first 2 shown]
	v_add_f64_e32 v[8:9], v[52:53], v[8:9]
	v_fma_f64 v[52:53], v[128:129], s[36:37], v[166:167]
	v_add_f64_e32 v[10:11], v[52:53], v[10:11]
	v_fma_f64 v[52:53], v[162:163], s[18:19], v[210:211]
	s_delay_alu instid0(VALU_DEP_1) | instskip(NEXT) | instid1(VALU_DEP_3)
	v_add_f64_e32 v[54:55], v[52:53], v[8:9]
	v_add_f64_e32 v[52:53], v[60:61], v[10:11]
	v_fma_f64 v[8:9], v[80:81], s[30:31], v[56:57]
	v_fma_f64 v[10:11], v[104:105], s[6:7], v[58:59]
	;; [unrolled: 1-line block ×4, first 2 shown]
	s_delay_alu instid0(VALU_DEP_4) | instskip(NEXT) | instid1(VALU_DEP_4)
	v_add_f64_e32 v[8:9], v[8:9], v[64:65]
	v_add_f64_e32 v[6:7], v[10:11], v[6:7]
	v_fma_f64 v[10:11], v[88:89], s[10:11], v[180:181]
	v_fma_f64 v[64:65], v[162:163], s[6:7], v[178:179]
	s_delay_alu instid0(VALU_DEP_2) | instskip(SKIP_1) | instid1(VALU_DEP_1)
	v_add_f64_e32 v[8:9], v[10:11], v[8:9]
	v_fma_f64 v[10:11], v[116:117], s[46:47], v[182:183]
	v_add_f64_e32 v[6:7], v[10:11], v[6:7]
	v_fma_f64 v[10:11], v[100:101], s[16:17], v[184:185]
	s_delay_alu instid0(VALU_DEP_1) | instskip(SKIP_1) | instid1(VALU_DEP_1)
	v_add_f64_e32 v[8:9], v[10:11], v[8:9]
	v_fma_f64 v[10:11], v[136:137], s[42:43], v[186:187]
	v_add_f64_e32 v[6:7], v[10:11], v[6:7]
	v_fma_f64 v[10:11], v[106:107], s[36:37], v[188:189]
	s_delay_alu instid0(VALU_DEP_1) | instskip(SKIP_1) | instid1(VALU_DEP_1)
	v_add_f64_e32 v[8:9], v[10:11], v[8:9]
	v_fma_f64 v[10:11], v[152:153], s[22:23], v[190:191]
	v_add_f64_e32 v[6:7], v[10:11], v[6:7]
	v_fma_f64 v[10:11], v[118:119], s[20:21], v[192:193]
	s_delay_alu instid0(VALU_DEP_1) | instskip(SKIP_1) | instid1(VALU_DEP_1)
	v_add_f64_e32 v[8:9], v[10:11], v[8:9]
	v_fma_f64 v[10:11], v[154:155], s[50:51], v[194:195]
	v_add_f64_e32 v[6:7], v[10:11], v[6:7]
	v_fma_f64 v[10:11], v[128:129], s[14:15], v[196:197]
	s_delay_alu instid0(VALU_DEP_1) | instskip(SKIP_1) | instid1(VALU_DEP_2)
	v_add_f64_e32 v[8:9], v[10:11], v[8:9]
	v_fma_f64 v[10:11], v[162:163], s[54:55], v[198:199]
	v_add_f64_e32 v[56:57], v[56:57], v[8:9]
	s_delay_alu instid0(VALU_DEP_2) | instskip(SKIP_3) | instid1(VALU_DEP_3)
	v_add_f64_e32 v[58:59], v[10:11], v[6:7]
	v_fma_f64 v[10:11], v[104:105], s[26:27], v[70:71]
	v_fma_f64 v[8:9], v[116:117], s[0:1], v[78:79]
	;; [unrolled: 1-line block ×3, first 2 shown]
	v_add_f64_e32 v[0:1], v[10:11], v[0:1]
	v_fma_f64 v[10:11], v[88:89], s[24:25], v[76:77]
	s_delay_alu instid0(VALU_DEP_2) | instskip(NEXT) | instid1(VALU_DEP_2)
	v_add_f64_e32 v[0:1], v[8:9], v[0:1]
	v_add_f64_e32 v[4:5], v[10:11], v[4:5]
	v_fma_f64 v[8:9], v[100:101], s[14:15], v[156:157]
	v_mul_f64_e32 v[10:11], s[10:11], v[80:81]
	s_delay_alu instid0(VALU_DEP_4) | instskip(SKIP_1) | instid1(VALU_DEP_4)
	v_add_f64_e32 v[0:1], v[6:7], v[0:1]
	v_fma_f64 v[6:7], v[106:107], s[16:17], v[164:165]
	v_add_f64_e32 v[4:5], v[8:9], v[4:5]
	v_mul_f64_e32 v[8:9], s[16:17], v[88:89]
	v_add_f64_e64 v[10:11], v[10:11], -v[82:83]
	v_add_f64_e32 v[0:1], v[60:61], v[0:1]
	s_delay_alu instid0(VALU_DEP_4) | instskip(SKIP_4) | instid1(VALU_DEP_4)
	v_add_f64_e32 v[4:5], v[6:7], v[4:5]
	v_fma_f64 v[6:7], v[118:119], s[30:31], v[172:173]
	v_add_f64_e64 v[8:9], v[8:9], -v[90:91]
	v_add_f64_e32 v[10:11], v[10:11], v[74:75]
	v_add_f64_e32 v[0:1], v[62:63], v[0:1]
	;; [unrolled: 1-line block ×3, first 2 shown]
	v_fma_f64 v[6:7], v[128:129], s[28:29], v[176:177]
	s_delay_alu instid0(VALU_DEP_3) | instskip(SKIP_2) | instid1(VALU_DEP_4)
	v_add_f64_e32 v[62:63], v[64:65], v[0:1]
	v_mul_f64_e32 v[0:1], s[20:21], v[112:113]
	v_mul_f64_e32 v[64:65], s[24:25], v[122:123]
	v_add_f64_e32 v[4:5], v[6:7], v[4:5]
	v_mul_f64_e32 v[6:7], s[20:21], v[100:101]
	s_delay_alu instid0(VALU_DEP_4) | instskip(NEXT) | instid1(VALU_DEP_4)
	v_add_f64_e32 v[0:1], v[114:115], v[0:1]
	v_add_f64_e32 v[64:65], v[124:125], v[64:65]
	s_delay_alu instid0(VALU_DEP_4) | instskip(SKIP_3) | instid1(VALU_DEP_3)
	v_add_f64_e32 v[60:61], v[2:3], v[4:5]
	v_mul_f64_e32 v[4:5], s[10:11], v[84:85]
	v_mul_f64_e32 v[2:3], s[16:17], v[96:97]
	v_add_f64_e64 v[6:7], v[6:7], -v[102:103]
	v_add_f64_e32 v[4:5], v[86:87], v[4:5]
	s_delay_alu instid0(VALU_DEP_3) | instskip(NEXT) | instid1(VALU_DEP_2)
	v_add_f64_e32 v[2:3], v[98:99], v[2:3]
	v_add_f64_e32 v[4:5], v[4:5], v[72:73]
	s_delay_alu instid0(VALU_DEP_1) | instskip(SKIP_2) | instid1(VALU_DEP_3)
	v_add_f64_e32 v[2:3], v[2:3], v[4:5]
	v_add_f64_e32 v[4:5], v[8:9], v[10:11]
	v_mul_f64_e32 v[8:9], s[28:29], v[118:119]
	v_add_f64_e32 v[0:1], v[0:1], v[2:3]
	s_delay_alu instid0(VALU_DEP_3) | instskip(SKIP_1) | instid1(VALU_DEP_4)
	v_add_f64_e32 v[2:3], v[6:7], v[4:5]
	v_mul_f64_e32 v[4:5], s[30:31], v[142:143]
	v_add_f64_e64 v[8:9], v[8:9], -v[120:121]
	v_mul_f64_e32 v[6:7], s[30:31], v[128:129]
	v_add_f64_e32 v[0:1], v[64:65], v[0:1]
	v_add_f64_e32 v[2:3], v[66:67], v[2:3]
	;; [unrolled: 1-line block ×3, first 2 shown]
	s_delay_alu instid0(VALU_DEP_4) | instskip(NEXT) | instid1(VALU_DEP_4)
	v_add_f64_e64 v[6:7], v[6:7], -v[130:131]
	v_add_f64_e32 v[0:1], v[68:69], v[0:1]
	s_delay_alu instid0(VALU_DEP_4) | instskip(SKIP_1) | instid1(VALU_DEP_3)
	v_add_f64_e32 v[2:3], v[8:9], v[2:3]
	v_mul_f64_e32 v[8:9], s[36:37], v[148:149]
	v_add_f64_e32 v[0:1], v[4:5], v[0:1]
	v_mul_f64_e32 v[4:5], s[36:37], v[138:139]
	s_delay_alu instid0(VALU_DEP_3) | instskip(SKIP_1) | instid1(VALU_DEP_3)
	v_add_f64_e32 v[8:9], v[150:151], v[8:9]
	v_add_f64_e32 v[2:3], v[6:7], v[2:3]
	v_add_f64_e64 v[4:5], v[4:5], -v[140:141]
	s_delay_alu instid0(VALU_DEP_3) | instskip(SKIP_1) | instid1(VALU_DEP_1)
	v_add_f64_e32 v[66:67], v[8:9], v[0:1]
	v_mul_lo_u16 v0, v242, 17
	v_and_b32_e32 v0, 0xffff, v0
	s_delay_alu instid0(VALU_DEP_1)
	v_lshlrev_b32_e32 v0, 4, v0
	ds_store_b128 v0, v[32:35] offset:32
	ds_store_b128 v0, v[36:39] offset:48
	;; [unrolled: 1-line block ×9, first 2 shown]
	v_add_f64_e32 v[64:65], v[4:5], v[2:3]
	scratch_load_b128 v[1:4], off, off      ; 16-byte Folded Reload
	s_wait_loadcnt 0x0
	ds_store_b128 v0, v[1:4] offset:224
	ds_store_b128 v0, v[248:251] offset:240
	;; [unrolled: 1-line block ×6, first 2 shown]
	ds_store_b128 v0, v[16:19]
	ds_store_b128 v0, v[244:247] offset:256
.LBB0_7:
	s_or_b32 exec_lo, exec_lo, s33
	v_add_nc_u16 v40, v242, 0x77
	v_and_b32_e32 v0, 0xff, v242
	v_add_co_u32 v2, null, 0x1dc, v242
	v_add_co_u32 v5, null, 0x253, v242
	s_delay_alu instid0(VALU_DEP_4) | instskip(NEXT) | instid1(VALU_DEP_4)
	v_and_b32_e32 v1, 0xff, v40
	v_mul_lo_u16 v45, 0xf1, v0
	v_add_co_u32 v0, null, 0xee, v242
	v_add_co_u32 v6, null, 0x2ca, v242
	s_delay_alu instid0(VALU_DEP_4) | instskip(NEXT) | instid1(VALU_DEP_4)
	v_mul_lo_u16 v41, 0xf1, v1
	v_lshrrev_b16 v12, 12, v45
	v_add_co_u32 v1, null, 0x165, v242
	v_and_b32_e32 v7, 0xffff, v0
	s_delay_alu instid0(VALU_DEP_4) | instskip(NEXT) | instid1(VALU_DEP_4)
	v_lshrrev_b16 v42, 12, v41
	v_mul_lo_u16 v3, v12, 17
	s_delay_alu instid0(VALU_DEP_4)
	v_and_b32_e32 v8, 0xffff, v1
	v_and_b32_e32 v9, 0xffff, v2
	v_mul_u32_u24_e32 v7, 0xf0f1, v7
	v_mul_lo_u16 v4, v42, 17
	v_sub_nc_u16 v3, v242, v3
	v_mul_u32_u24_e32 v8, 0xf0f1, v8
	v_mul_u32_u24_e32 v9, 0xf0f1, v9
	v_lshrrev_b32_e32 v13, 20, v7
	v_sub_nc_u16 v4, v40, v4
	v_and_b32_e32 v44, 0xff, v3
	v_and_b32_e32 v3, 0xffff, v5
	v_lshrrev_b32_e32 v14, 20, v8
	v_lshrrev_b32_e32 v15, 20, v9
	v_and_b32_e32 v43, 0xff, v4
	v_and_b32_e32 v4, 0xffff, v6
	v_mul_u32_u24_e32 v3, 0xf0f1, v3
	v_mul_lo_u16 v7, v13, 17
	v_lshlrev_b32_e32 v10, 4, v44
	v_lshlrev_b32_e32 v11, 4, v43
	v_mul_u32_u24_e32 v4, 0xf0f1, v4
	v_lshrrev_b32_e32 v16, 20, v3
	v_mul_lo_u16 v3, v14, 17
	v_sub_nc_u16 v18, v0, v7
	s_load_b128 s[0:3], s[2:3], 0x0
	v_lshrrev_b32_e32 v17, 20, v4
	v_mul_lo_u16 v4, v15, 17
	v_mul_lo_u16 v0, v16, 17
	v_sub_nc_u16 v19, v1, v3
	global_wb scope:SCOPE_SE
	s_wait_dscnt 0x0
	v_mul_lo_u16 v1, v17, 17
	v_sub_nc_u16 v20, v2, v4
	v_and_b32_e32 v2, 0xffff, v18
	v_sub_nc_u16 v21, v5, v0
	v_and_b32_e32 v0, 0xffff, v19
	;; [unrolled: 2-line block ×3, first 2 shown]
	v_lshlrev_b32_e32 v2, 4, v2
	v_and_b32_e32 v3, 0xffff, v21
	v_lshlrev_b32_e32 v0, 4, v0
	v_and_b32_e32 v4, 0xffff, v22
	v_lshlrev_b32_e32 v1, 4, v1
	s_wait_kmcnt 0x0
	s_barrier_signal -1
	s_barrier_wait -1
	global_inv scope:SCOPE_SE
	s_clause 0x3
	global_load_b128 v[27:30], v10, s[4:5]
	global_load_b128 v[23:26], v11, s[4:5]
	global_load_b128 v[94:97], v2, s[4:5]
	global_load_b128 v[98:101], v0, s[4:5]
	v_lshlrev_b32_e32 v2, 4, v3
	v_lshlrev_b32_e32 v0, 4, v4
	s_clause 0x2
	global_load_b128 v[102:105], v1, s[4:5]
	global_load_b128 v[35:38], v2, s[4:5]
	global_load_b128 v[31:34], v0, s[4:5]
	v_and_b32_e32 v0, 0xffff, v242
	s_mov_b32 s16, 0x37e14327
	s_mov_b32 s18, 0xe976ee23
	;; [unrolled: 1-line block ×4, first 2 shown]
	v_lshlrev_b32_e32 v217, 4, v0
	ds_load_b128 v[46:49], v217 offset:13328
	ds_load_b128 v[50:53], v217 offset:15232
	;; [unrolled: 1-line block ×8, first 2 shown]
	s_mov_b32 s19, 0xbfe11646
	s_mov_b32 s11, 0x3febfeb5
	;; [unrolled: 1-line block ×10, first 2 shown]
	s_wait_alu 0xfffe
	s_mov_b32 s24, s26
	s_mov_b32 s21, 0x3fe77f67
	;; [unrolled: 1-line block ×6, first 2 shown]
	s_wait_loadcnt_dscnt 0x607
	v_mul_f64_e32 v[0:1], v[48:49], v[29:30]
	v_mul_f64_e32 v[2:3], v[46:47], v[29:30]
	s_wait_loadcnt_dscnt 0x506
	v_mul_f64_e32 v[4:5], v[52:53], v[25:26]
	v_mul_f64_e32 v[6:7], v[50:51], v[25:26]
	s_wait_loadcnt_dscnt 0x405
	v_mul_f64_e32 v[8:9], v[56:57], v[96:97]
	v_mul_f64_e32 v[10:11], v[54:55], v[96:97]
	s_wait_loadcnt_dscnt 0x304
	v_mul_f64_e32 v[78:79], v[60:61], v[100:101]
	v_mul_f64_e32 v[80:81], v[58:59], v[100:101]
	s_wait_loadcnt_dscnt 0x203
	v_mul_f64_e32 v[82:83], v[64:65], v[104:105]
	v_mul_f64_e32 v[84:85], v[62:63], v[104:105]
	s_wait_loadcnt_dscnt 0x102
	v_mul_f64_e32 v[86:87], v[68:69], v[37:38]
	v_mul_f64_e32 v[88:89], v[66:67], v[37:38]
	s_wait_loadcnt_dscnt 0x1
	v_mul_f64_e32 v[90:91], v[72:73], v[33:34]
	v_mul_f64_e32 v[92:93], v[70:71], v[33:34]
	s_clause 0x6
	scratch_store_b128 off, v[94:97], off offset:80
	scratch_store_b128 off, v[98:101], off offset:96
	scratch_store_b128 off, v[27:30], off offset:32
	scratch_store_b128 off, v[23:26], off offset:16
	scratch_store_b128 off, v[102:105], off offset:112
	scratch_store_b128 off, v[35:38], off offset:64
	scratch_store_b128 off, v[31:34], off offset:48
	v_fma_f64 v[0:1], v[46:47], v[27:28], -v[0:1]
	v_fma_f64 v[2:3], v[48:49], v[27:28], v[2:3]
	v_fma_f64 v[4:5], v[50:51], v[23:24], -v[4:5]
	v_fma_f64 v[6:7], v[52:53], v[23:24], v[6:7]
	v_fma_f64 v[8:9], v[54:55], v[94:95], -v[8:9]
	v_fma_f64 v[10:11], v[56:57], v[94:95], v[10:11]
	v_fma_f64 v[94:95], v[58:59], v[98:99], -v[78:79]
	v_fma_f64 v[96:97], v[60:61], v[98:99], v[80:81]
	v_fma_f64 v[98:99], v[62:63], v[102:103], -v[82:83]
	v_fma_f64 v[100:101], v[64:65], v[102:103], v[84:85]
	v_fma_f64 v[86:87], v[66:67], v[35:36], -v[86:87]
	v_fma_f64 v[88:89], v[68:69], v[35:36], v[88:89]
	v_fma_f64 v[90:91], v[70:71], v[31:32], -v[90:91]
	v_fma_f64 v[106:107], v[72:73], v[31:32], v[92:93]
	ds_load_b128 v[46:49], v217
	ds_load_b128 v[50:53], v217 offset:1904
	ds_load_b128 v[54:57], v217 offset:3808
	;; [unrolled: 1-line block ×5, first 2 shown]
	global_wb scope:SCOPE_SE
	s_wait_storecnt_dscnt 0x0
	s_barrier_signal -1
	s_barrier_wait -1
	global_inv scope:SCOPE_SE
	v_add_f64_e64 v[70:71], v[46:47], -v[0:1]
	v_add_f64_e64 v[72:73], v[48:49], -v[2:3]
	;; [unrolled: 1-line block ×14, first 2 shown]
	v_lshrrev_b16 v90, 13, v45
	v_lshrrev_b16 v91, 13, v41
	v_and_b32_e32 v2, 0xffff, v42
	v_mul_lo_u16 v1, v12, 34
	v_mad_u16 v4, v13, 34, v18
	v_mul_lo_u16 v0, v90, 34
	v_mul_lo_u16 v3, v91, 34
	v_mul_u32_u24_e32 v2, 34, v2
	v_mad_u16 v5, v14, 34, v19
	v_mad_u16 v6, v15, 34, v20
	v_sub_nc_u16 v0, v242, v0
	v_sub_nc_u16 v3, v40, v3
	v_mad_u16 v7, v16, 34, v21
	v_mad_u16 v8, v17, 34, v22
	v_and_b32_e32 v1, 0xfe, v1
	v_and_b32_e32 v88, 0xff, v0
	;; [unrolled: 1-line block ×3, first 2 shown]
	v_add_lshl_u32 v240, v2, v43, 4
	v_and_b32_e32 v2, 0xffff, v4
	v_and_b32_e32 v3, 0xffff, v5
	;; [unrolled: 1-line block ×5, first 2 shown]
	v_add_lshl_u32 v9, v1, v44, 4
	v_fma_f64 v[45:46], v[46:47], 2.0, -v[70:71]
	v_fma_f64 v[47:48], v[48:49], 2.0, -v[72:73]
	;; [unrolled: 1-line block ×14, first 2 shown]
	v_mad_co_u64_u32 v[0:1], null, 0x60, v88, s[4:5]
	v_lshlrev_b32_e32 v255, 4, v2
	v_lshlrev_b32_e32 v7, 4, v3
	;; [unrolled: 1-line block ×5, first 2 shown]
	scratch_store_b32 off, v9, off offset:160 ; 4-byte Folded Spill
	ds_store_b128 v9, v[45:48]
	ds_store_b128 v9, v[70:73] offset:272
	ds_store_b128 v240, v[49:52]
	ds_store_b128 v240, v[78:81] offset:272
	;; [unrolled: 2-line block ×3, first 2 shown]
	ds_store_b128 v7, v[57:60]
	scratch_store_b32 off, v7, off offset:156 ; 4-byte Folded Spill
	ds_store_b128 v7, v[92:95] offset:272
	ds_store_b128 v4, v[61:64]
	scratch_store_b32 off, v4, off offset:152 ; 4-byte Folded Spill
	ds_store_b128 v4, v[96:99] offset:272
	;; [unrolled: 3-line block ×4, first 2 shown]
	global_wb scope:SCOPE_SE
	s_wait_storecnt_dscnt 0x0
	s_barrier_signal -1
	s_barrier_wait -1
	global_inv scope:SCOPE_SE
	s_clause 0x1
	global_load_b128 v[52:55], v[0:1], off offset:272
	global_load_b128 v[44:47], v[0:1], off offset:288
	v_mad_co_u64_u32 v[2:3], null, 0x60, v89, s[4:5]
	s_clause 0x9
	global_load_b128 v[48:51], v[0:1], off offset:352
	global_load_b128 v[12:15], v[0:1], off offset:336
	global_load_b128 v[60:63], v[2:3], off offset:272
	global_load_b128 v[56:59], v[2:3], off offset:288
	global_load_b128 v[72:75], v[2:3], off offset:352
	global_load_b128 v[84:87], v[2:3], off offset:336
	global_load_b128 v[80:83], v[0:1], off offset:304
	global_load_b128 v[76:79], v[0:1], off offset:320
	global_load_b128 v[68:71], v[2:3], off offset:304
	global_load_b128 v[64:67], v[2:3], off offset:320
	ds_load_b128 v[92:95], v217 offset:3808
	ds_load_b128 v[96:99], v217 offset:7616
	;; [unrolled: 1-line block ×12, first 2 shown]
	s_wait_loadcnt_dscnt 0x909
	v_mul_f64_e32 v[8:9], v[102:103], v[50:51]
	v_mul_f64_e32 v[0:1], v[94:95], v[54:55]
	;; [unrolled: 1-line block ×6, first 2 shown]
	s_wait_loadcnt_dscnt 0x808
	v_mul_f64_e32 v[140:141], v[106:107], v[14:15]
	v_mul_f64_e32 v[142:143], v[104:105], v[14:15]
	s_wait_loadcnt_dscnt 0x707
	v_mul_f64_e32 v[144:145], v[110:111], v[62:63]
	v_mul_f64_e32 v[146:147], v[108:109], v[62:63]
	;; [unrolled: 3-line block ×6, first 2 shown]
	s_wait_loadcnt 0x2
	v_mul_f64_e32 v[164:165], v[126:127], v[78:79]
	v_mul_f64_e32 v[166:167], v[124:125], v[78:79]
	scratch_store_b128 off, v[12:15], off offset:128 ; 16-byte Folded Spill
	v_fma_f64 v[8:9], v[100:101], v[48:49], -v[8:9]
	v_fma_f64 v[0:1], v[92:93], v[52:53], -v[0:1]
	v_fma_f64 v[2:3], v[94:95], v[52:53], v[2:3]
	v_fma_f64 v[4:5], v[96:97], v[44:45], -v[4:5]
	v_fma_f64 v[6:7], v[98:99], v[44:45], v[6:7]
	v_fma_f64 v[10:11], v[102:103], v[48:49], v[10:11]
	v_fma_f64 v[92:93], v[104:105], v[12:13], -v[140:141]
	v_fma_f64 v[94:95], v[106:107], v[12:13], v[142:143]
	s_wait_loadcnt_dscnt 0x101
	v_mul_f64_e32 v[96:97], v[134:135], v[70:71]
	v_mul_f64_e32 v[98:99], v[132:133], v[70:71]
	s_wait_loadcnt_dscnt 0x0
	v_mul_f64_e32 v[100:101], v[138:139], v[66:67]
	v_mul_f64_e32 v[102:103], v[136:137], v[66:67]
	v_fma_f64 v[104:105], v[108:109], v[60:61], -v[144:145]
	v_fma_f64 v[106:107], v[110:111], v[60:61], v[146:147]
	v_fma_f64 v[108:109], v[112:113], v[56:57], -v[148:149]
	v_fma_f64 v[110:111], v[114:115], v[56:57], v[150:151]
	;; [unrolled: 2-line block ×6, first 2 shown]
	v_add_f64_e32 v[128:129], v[0:1], v[8:9]
	v_add_f64_e64 v[0:1], v[0:1], -v[8:9]
	v_add_f64_e32 v[130:131], v[2:3], v[10:11]
	v_add_f64_e32 v[140:141], v[4:5], v[92:93]
	;; [unrolled: 1-line block ×3, first 2 shown]
	v_fma_f64 v[96:97], v[132:133], v[68:69], -v[96:97]
	v_fma_f64 v[98:99], v[134:135], v[68:69], v[98:99]
	v_fma_f64 v[100:101], v[136:137], v[64:65], -v[100:101]
	v_fma_f64 v[102:103], v[138:139], v[64:65], v[102:103]
	v_add_f64_e64 v[4:5], v[4:5], -v[92:93]
	v_add_f64_e64 v[6:7], v[6:7], -v[94:95]
	;; [unrolled: 1-line block ×3, first 2 shown]
	v_add_f64_e32 v[132:133], v[104:105], v[112:113]
	v_add_f64_e32 v[134:135], v[106:107], v[114:115]
	;; [unrolled: 1-line block ×4, first 2 shown]
	v_add_f64_e64 v[108:109], v[108:109], -v[116:117]
	v_add_f64_e64 v[110:111], v[110:111], -v[118:119]
	v_add_f64_e32 v[144:145], v[120:121], v[124:125]
	v_add_f64_e32 v[146:147], v[122:123], v[126:127]
	v_add_f64_e64 v[120:121], v[124:125], -v[120:121]
	v_add_f64_e64 v[122:123], v[126:127], -v[122:123]
	;; [unrolled: 1-line block ×4, first 2 shown]
	v_add_f64_e32 v[8:9], v[140:141], v[128:129]
	v_add_f64_e32 v[10:11], v[142:143], v[130:131]
	;; [unrolled: 1-line block ×4, first 2 shown]
	v_add_f64_e64 v[100:101], v[100:101], -v[96:97]
	v_add_f64_e64 v[102:103], v[102:103], -v[98:99]
	;; [unrolled: 1-line block ×4, first 2 shown]
	v_add_f64_e32 v[96:97], v[136:137], v[132:133]
	v_add_f64_e32 v[98:99], v[138:139], v[134:135]
	v_add_f64_e64 v[112:113], v[128:129], -v[144:145]
	v_add_f64_e64 v[114:115], v[130:131], -v[146:147]
	;; [unrolled: 1-line block ×8, first 2 shown]
	v_add_f64_e32 v[4:5], v[120:121], v[4:5]
	v_add_f64_e32 v[6:7], v[122:123], v[6:7]
	v_add_f64_e64 v[120:121], v[0:1], -v[120:121]
	v_add_f64_e64 v[122:123], v[2:3], -v[122:123]
	;; [unrolled: 1-line block ×4, first 2 shown]
	v_add_f64_e32 v[8:9], v[144:145], v[8:9]
	v_add_f64_e32 v[10:11], v[146:147], v[10:11]
	v_add_f64_e64 v[144:145], v[132:133], -v[92:93]
	v_add_f64_e64 v[146:147], v[134:135], -v[94:95]
	;; [unrolled: 1-line block ×6, first 2 shown]
	v_add_f64_e32 v[108:109], v[100:101], v[108:109]
	v_add_f64_e32 v[110:111], v[102:103], v[110:111]
	;; [unrolled: 1-line block ×4, first 2 shown]
	ds_load_b128 v[92:95], v217
	ds_load_b128 v[96:99], v217 offset:1904
	v_mul_f64_e32 v[168:169], s[10:11], v[148:149]
	v_mul_f64_e32 v[112:113], s[16:17], v[112:113]
	;; [unrolled: 1-line block ×8, first 2 shown]
	v_add_f64_e64 v[100:101], v[104:105], -v[100:101]
	v_add_f64_e64 v[102:103], v[106:107], -v[102:103]
	v_mul_f64_e32 v[172:173], s[10:11], v[156:157]
	v_mul_f64_e32 v[174:175], s[10:11], v[158:159]
	v_add_f64_e64 v[132:133], v[136:137], -v[132:133]
	v_add_f64_e64 v[134:135], v[138:139], -v[134:135]
	v_add_f64_e32 v[0:1], v[4:5], v[0:1]
	v_add_f64_e32 v[2:3], v[6:7], v[2:3]
	global_wb scope:SCOPE_SE
	s_wait_storecnt_dscnt 0x0
	s_barrier_signal -1
	s_barrier_wait -1
	global_inv scope:SCOPE_SE
	v_add_f64_e32 v[92:93], v[92:93], v[8:9]
	v_add_f64_e32 v[94:95], v[94:95], v[10:11]
	v_mul_f64_e32 v[144:145], s[16:17], v[144:145]
	v_mul_f64_e32 v[146:147], s[16:17], v[146:147]
	;; [unrolled: 1-line block ×6, first 2 shown]
	v_add_f64_e32 v[4:5], v[108:109], v[104:105]
	v_add_f64_e32 v[6:7], v[110:111], v[106:107]
	;; [unrolled: 1-line block ×4, first 2 shown]
	v_fma_f64 v[104:105], v[116:117], s[6:7], v[112:113]
	v_fma_f64 v[106:107], v[118:119], s[6:7], v[114:115]
	;; [unrolled: 1-line block ×4, first 2 shown]
	v_fma_f64 v[124:125], v[148:149], s[10:11], -v[124:125]
	v_fma_f64 v[126:127], v[150:151], s[10:11], -v[126:127]
	s_wait_alu 0xfffe
	v_fma_f64 v[120:121], v[120:121], s[24:25], -v[168:169]
	v_fma_f64 v[122:123], v[122:123], s[24:25], -v[170:171]
	;; [unrolled: 1-line block ×6, first 2 shown]
	v_fma_f64 v[8:9], v[8:9], s[14:15], v[92:93]
	v_fma_f64 v[10:11], v[10:11], s[14:15], v[94:95]
	;; [unrolled: 1-line block ×6, first 2 shown]
	v_fma_f64 v[148:149], v[156:157], s[10:11], -v[152:153]
	v_fma_f64 v[150:151], v[158:159], s[10:11], -v[154:155]
	;; [unrolled: 1-line block ×4, first 2 shown]
	v_fma_f64 v[152:153], v[160:161], s[14:15], v[96:97]
	v_fma_f64 v[154:155], v[162:163], s[14:15], v[98:99]
	v_fma_f64 v[144:145], v[132:133], s[22:23], -v[144:145]
	v_fma_f64 v[146:147], v[134:135], s[22:23], -v[146:147]
	;; [unrolled: 1-line block ×4, first 2 shown]
	v_fma_f64 v[136:137], v[0:1], s[28:29], v[116:117]
	v_fma_f64 v[138:139], v[2:3], s[28:29], v[118:119]
	;; [unrolled: 1-line block ×6, first 2 shown]
	v_add_f64_e32 v[120:121], v[104:105], v[8:9]
	v_add_f64_e32 v[122:123], v[106:107], v[10:11]
	;; [unrolled: 1-line block ×6, first 2 shown]
	v_fma_f64 v[156:157], v[4:5], s[28:29], v[140:141]
	v_fma_f64 v[158:159], v[6:7], s[28:29], v[142:143]
	;; [unrolled: 1-line block ×6, first 2 shown]
	v_add_f64_e32 v[148:149], v[128:129], v[152:153]
	v_add_f64_e32 v[150:151], v[130:131], v[154:155]
	;; [unrolled: 1-line block ×7, first 2 shown]
	v_add_f64_e64 v[102:103], v[122:123], -v[136:137]
	v_add_f64_e32 v[104:105], v[2:3], v[124:125]
	v_add_f64_e64 v[106:107], v[126:127], -v[0:1]
	v_add_f64_e64 v[108:109], v[8:9], -v[118:119]
	v_add_f64_e32 v[110:111], v[116:117], v[10:11]
	v_add_f64_e32 v[112:113], v[118:119], v[8:9]
	v_add_f64_e64 v[114:115], v[10:11], -v[116:117]
	v_add_f64_e64 v[116:117], v[124:125], -v[2:3]
	v_add_f64_e32 v[118:119], v[0:1], v[126:127]
	v_add_f64_e64 v[120:121], v[120:121], -v[138:139]
	v_add_f64_e32 v[122:123], v[136:137], v[122:123]
	v_add_f64_e32 v[124:125], v[158:159], v[148:149]
	v_add_f64_e64 v[126:127], v[150:151], -v[156:157]
	v_add_f64_e32 v[128:129], v[6:7], v[144:145]
	v_add_f64_e64 v[130:131], v[146:147], -v[4:5]
	v_add_f64_e64 v[132:133], v[152:153], -v[142:143]
	v_add_f64_e32 v[134:135], v[140:141], v[154:155]
	v_add_f64_e32 v[136:137], v[142:143], v[152:153]
	v_add_f64_e64 v[138:139], v[154:155], -v[140:141]
	v_add_f64_e64 v[140:141], v[144:145], -v[6:7]
	v_add_f64_e32 v[142:143], v[4:5], v[146:147]
	v_add_f64_e64 v[144:145], v[148:149], -v[158:159]
	v_add_f64_e32 v[146:147], v[156:157], v[150:151]
	v_and_b32_e32 v0, 0xffff, v90
	v_and_b32_e32 v1, 0xffff, v91
	s_delay_alu instid0(VALU_DEP_2) | instskip(NEXT) | instid1(VALU_DEP_2)
	v_mul_u32_u24_e32 v2, 0xee, v0
	v_mul_u32_u24_e32 v3, 0xee, v1
	v_mad_co_u64_u32 v[0:1], null, 0x60, v242, s[4:5]
	s_delay_alu instid0(VALU_DEP_3) | instskip(NEXT) | instid1(VALU_DEP_3)
	v_add_lshl_u32 v227, v2, v88, 4
	v_add_lshl_u32 v200, v3, v89, 4
	ds_store_b128 v227, v[92:95]
	ds_store_b128 v227, v[100:103] offset:544
	ds_store_b128 v227, v[104:107] offset:1088
	;; [unrolled: 1-line block ×6, first 2 shown]
	ds_store_b128 v200, v[96:99]
	ds_store_b128 v200, v[124:127] offset:544
	ds_store_b128 v200, v[128:131] offset:1088
	;; [unrolled: 1-line block ×6, first 2 shown]
	global_wb scope:SCOPE_SE
	s_wait_dscnt 0x0
	s_barrier_signal -1
	s_barrier_wait -1
	global_inv scope:SCOPE_SE
	s_clause 0xb
	global_load_b128 v[92:95], v[0:1], off offset:3536
	global_load_b128 v[88:91], v[0:1], off offset:3552
	;; [unrolled: 1-line block ×12, first 2 shown]
	ds_load_b128 v[136:139], v217 offset:3808
	ds_load_b128 v[140:143], v217 offset:7616
	;; [unrolled: 1-line block ×12, first 2 shown]
	s_wait_loadcnt_dscnt 0xb0b
	v_mul_f64_e32 v[0:1], v[138:139], v[94:95]
	v_mul_f64_e32 v[2:3], v[136:137], v[94:95]
	s_wait_loadcnt_dscnt 0xa0a
	v_mul_f64_e32 v[4:5], v[142:143], v[90:91]
	v_mul_f64_e32 v[6:7], v[140:141], v[90:91]
	;; [unrolled: 3-line block ×9, first 2 shown]
	s_wait_loadcnt 0x2
	v_mul_f64_e32 v[209:210], v[170:171], v[126:127]
	v_mul_f64_e32 v[211:212], v[168:169], v[126:127]
	v_fma_f64 v[0:1], v[136:137], v[92:93], -v[0:1]
	v_fma_f64 v[2:3], v[138:139], v[92:93], v[2:3]
	v_fma_f64 v[4:5], v[140:141], v[88:89], -v[4:5]
	v_fma_f64 v[6:7], v[142:143], v[88:89], v[6:7]
	;; [unrolled: 2-line block ×4, first 2 shown]
	s_wait_loadcnt_dscnt 0x101
	v_mul_f64_e32 v[140:141], v[178:179], v[118:119]
	v_mul_f64_e32 v[142:143], v[176:177], v[118:119]
	s_wait_loadcnt_dscnt 0x0
	v_mul_f64_e32 v[144:145], v[182:183], v[114:115]
	v_mul_f64_e32 v[146:147], v[180:181], v[114:115]
	v_fma_f64 v[148:149], v[152:153], v[108:109], -v[188:189]
	v_fma_f64 v[150:151], v[154:155], v[108:109], v[190:191]
	v_fma_f64 v[152:153], v[156:157], v[104:105], -v[192:193]
	v_fma_f64 v[154:155], v[158:159], v[104:105], v[194:195]
	v_fma_f64 v[156:157], v[160:161], v[120:121], -v[196:197]
	v_fma_f64 v[158:159], v[162:163], v[120:121], v[198:199]
	v_fma_f64 v[160:161], v[164:165], v[132:133], -v[201:202]
	v_fma_f64 v[162:163], v[166:167], v[132:133], v[203:204]
	v_fma_f64 v[164:165], v[172:173], v[128:129], -v[205:206]
	v_fma_f64 v[166:167], v[174:175], v[128:129], v[207:208]
	v_fma_f64 v[168:169], v[168:169], v[124:125], -v[209:210]
	v_fma_f64 v[170:171], v[170:171], v[124:125], v[211:212]
	v_add_f64_e32 v[172:173], v[0:1], v[8:9]
	v_add_f64_e32 v[174:175], v[2:3], v[10:11]
	v_add_f64_e32 v[184:185], v[4:5], v[136:137]
	v_add_f64_e32 v[186:187], v[6:7], v[138:139]
	v_fma_f64 v[140:141], v[176:177], v[116:117], -v[140:141]
	v_fma_f64 v[142:143], v[178:179], v[116:117], v[142:143]
	v_fma_f64 v[144:145], v[180:181], v[112:113], -v[144:145]
	v_fma_f64 v[146:147], v[182:183], v[112:113], v[146:147]
	v_add_f64_e64 v[4:5], v[4:5], -v[136:137]
	v_add_f64_e64 v[6:7], v[6:7], -v[138:139]
	v_add_f64_e64 v[0:1], v[0:1], -v[8:9]
	v_add_f64_e64 v[2:3], v[2:3], -v[10:11]
	v_add_f64_e32 v[176:177], v[148:149], v[156:157]
	v_add_f64_e32 v[178:179], v[150:151], v[158:159]
	;; [unrolled: 1-line block ×4, first 2 shown]
	v_add_f64_e64 v[152:153], v[152:153], -v[160:161]
	v_add_f64_e64 v[154:155], v[154:155], -v[162:163]
	v_add_f64_e32 v[188:189], v[164:165], v[168:169]
	v_add_f64_e32 v[190:191], v[166:167], v[170:171]
	v_add_f64_e64 v[164:165], v[168:169], -v[164:165]
	v_add_f64_e64 v[166:167], v[170:171], -v[166:167]
	v_add_f64_e64 v[148:149], v[148:149], -v[156:157]
	v_add_f64_e64 v[150:151], v[150:151], -v[158:159]
	v_add_f64_e32 v[8:9], v[184:185], v[172:173]
	v_add_f64_e32 v[10:11], v[186:187], v[174:175]
	;; [unrolled: 1-line block ×4, first 2 shown]
	v_add_f64_e64 v[144:145], v[144:145], -v[140:141]
	v_add_f64_e64 v[146:147], v[146:147], -v[142:143]
	;; [unrolled: 1-line block ×4, first 2 shown]
	v_add_f64_e32 v[140:141], v[180:181], v[176:177]
	v_add_f64_e32 v[142:143], v[182:183], v[178:179]
	v_add_f64_e64 v[156:157], v[172:173], -v[188:189]
	v_add_f64_e64 v[158:159], v[174:175], -v[190:191]
	;; [unrolled: 1-line block ×10, first 2 shown]
	v_add_f64_e32 v[4:5], v[164:165], v[4:5]
	v_add_f64_e32 v[6:7], v[166:167], v[6:7]
	v_add_f64_e64 v[164:165], v[0:1], -v[164:165]
	v_add_f64_e64 v[166:167], v[2:3], -v[166:167]
	v_add_f64_e32 v[8:9], v[188:189], v[8:9]
	v_add_f64_e32 v[10:11], v[190:191], v[10:11]
	v_add_f64_e64 v[188:189], v[176:177], -v[136:137]
	v_add_f64_e64 v[190:191], v[178:179], -v[138:139]
	;; [unrolled: 1-line block ×6, first 2 shown]
	v_add_f64_e32 v[152:153], v[144:145], v[152:153]
	v_add_f64_e32 v[154:155], v[146:147], v[154:155]
	;; [unrolled: 1-line block ×4, first 2 shown]
	ds_load_b128 v[136:139], v217
	ds_load_b128 v[140:143], v217 offset:1904
	v_mul_f64_e32 v[218:219], s[10:11], v[192:193]
	v_mul_f64_e32 v[156:157], s[16:17], v[156:157]
	;; [unrolled: 1-line block ×8, first 2 shown]
	v_add_f64_e64 v[144:145], v[148:149], -v[144:145]
	v_add_f64_e64 v[146:147], v[150:151], -v[146:147]
	v_mul_f64_e32 v[222:223], s[10:11], v[201:202]
	v_mul_f64_e32 v[224:225], s[10:11], v[203:204]
	v_add_f64_e32 v[0:1], v[4:5], v[0:1]
	v_add_f64_e32 v[2:3], v[6:7], v[2:3]
	s_wait_dscnt 0x1
	v_add_f64_e32 v[136:137], v[136:137], v[8:9]
	v_add_f64_e32 v[138:139], v[138:139], v[10:11]
	v_mul_f64_e32 v[188:189], s[16:17], v[188:189]
	v_mul_f64_e32 v[190:191], s[16:17], v[190:191]
	;; [unrolled: 1-line block ×4, first 2 shown]
	v_add_f64_e32 v[4:5], v[152:153], v[148:149]
	v_add_f64_e32 v[6:7], v[154:155], v[150:151]
	s_wait_dscnt 0x0
	v_add_f64_e32 v[160:161], v[140:141], v[205:206]
	v_add_f64_e32 v[162:163], v[142:143], v[207:208]
	v_add_f64_e64 v[140:141], v[180:181], -v[176:177]
	v_add_f64_e64 v[142:143], v[182:183], -v[178:179]
	v_mul_f64_e32 v[176:177], s[6:7], v[209:210]
	v_mul_f64_e32 v[178:179], s[6:7], v[211:212]
	v_fma_f64 v[148:149], v[168:169], s[6:7], v[156:157]
	v_fma_f64 v[150:151], v[170:171], s[6:7], v[158:159]
	v_fma_f64 v[152:153], v[172:173], s[20:21], -v[184:185]
	v_fma_f64 v[154:155], v[174:175], s[20:21], -v[186:187]
	v_fma_f64 v[168:169], v[164:165], s[26:27], v[213:214]
	v_fma_f64 v[170:171], v[166:167], s[26:27], v[215:216]
	v_fma_f64 v[180:181], v[192:193], s[10:11], -v[213:214]
	v_fma_f64 v[182:183], v[194:195], s[10:11], -v[215:216]
	;; [unrolled: 1-line block ×6, first 2 shown]
	v_lshlrev_b32_e32 v218, 4, v242
	v_fma_f64 v[8:9], v[8:9], s[14:15], v[136:137]
	v_fma_f64 v[10:11], v[10:11], s[14:15], v[138:139]
	;; [unrolled: 1-line block ×6, first 2 shown]
	v_fma_f64 v[192:193], v[201:202], s[10:11], -v[196:197]
	v_fma_f64 v[194:195], v[203:204], s[10:11], -v[198:199]
	;; [unrolled: 1-line block ×4, first 2 shown]
	v_fma_f64 v[196:197], v[205:206], s[14:15], v[160:161]
	v_fma_f64 v[198:199], v[207:208], s[14:15], v[162:163]
	v_fma_f64 v[188:189], v[140:141], s[22:23], -v[188:189]
	v_fma_f64 v[190:191], v[142:143], s[22:23], -v[190:191]
	;; [unrolled: 1-line block ×4, first 2 shown]
	v_fma_f64 v[176:177], v[0:1], s[28:29], v[168:169]
	v_fma_f64 v[168:169], v[2:3], s[28:29], v[170:171]
	;; [unrolled: 1-line block ×6, first 2 shown]
	v_add_f64_e32 v[164:165], v[148:149], v[8:9]
	v_add_f64_e32 v[166:167], v[150:151], v[10:11]
	;; [unrolled: 1-line block ×6, first 2 shown]
	v_fma_f64 v[201:202], v[4:5], s[28:29], v[184:185]
	v_fma_f64 v[203:204], v[6:7], s[28:29], v[186:187]
	;; [unrolled: 1-line block ×6, first 2 shown]
	v_add_f64_e32 v[205:206], v[172:173], v[196:197]
	v_add_f64_e32 v[207:208], v[174:175], v[198:199]
	;; [unrolled: 1-line block ×7, first 2 shown]
	v_add_f64_e64 v[142:143], v[166:167], -v[176:177]
	v_add_f64_e32 v[144:145], v[2:3], v[156:157]
	v_add_f64_e64 v[146:147], v[158:159], -v[0:1]
	v_add_f64_e64 v[148:149], v[8:9], -v[178:179]
	v_add_f64_e32 v[150:151], v[170:171], v[10:11]
	v_add_f64_e32 v[152:153], v[178:179], v[8:9]
	v_add_f64_e64 v[154:155], v[10:11], -v[170:171]
	v_add_f64_e64 v[156:157], v[156:157], -v[2:3]
	v_add_f64_e32 v[158:159], v[0:1], v[158:159]
	v_add_f64_e64 v[168:169], v[164:165], -v[168:169]
	v_add_f64_e32 v[170:171], v[176:177], v[166:167]
	v_add_f64_e32 v[188:189], v[203:204], v[205:206]
	v_add_f64_e64 v[190:191], v[207:208], -v[201:202]
	v_add_f64_e32 v[184:185], v[6:7], v[172:173]
	v_add_f64_e64 v[186:187], v[174:175], -v[4:5]
	v_add_f64_e64 v[180:181], v[196:197], -v[194:195]
	v_add_f64_e32 v[182:183], v[192:193], v[198:199]
	v_add_f64_e32 v[176:177], v[194:195], v[196:197]
	v_add_f64_e64 v[178:179], v[198:199], -v[192:193]
	v_add_f64_e64 v[172:173], v[172:173], -v[6:7]
	v_add_f64_e32 v[174:175], v[4:5], v[174:175]
	v_add_f64_e64 v[164:165], v[205:206], -v[203:204]
	v_add_f64_e32 v[166:167], v[201:202], v[207:208]
	ds_store_b128 v217, v[136:139]
	ds_store_b128 v217, v[160:163] offset:1904
	ds_store_b128 v217, v[140:143] offset:3808
	;; [unrolled: 1-line block ×13, first 2 shown]
	global_wb scope:SCOPE_SE
	s_wait_dscnt 0x0
	s_barrier_signal -1
	s_barrier_wait -1
	global_inv scope:SCOPE_SE
	s_and_saveexec_b32 s6, vcc_lo
	s_cbranch_execz .LBB0_9
; %bb.8:
	global_load_b128 v[201:204], v241, s[8:9] offset:26656
	s_add_nc_u64 s[4:5], s[8:9], 0x6820
	s_clause 0x3
	global_load_b128 v[192:195], v241, s[4:5] offset:1568
	global_load_b128 v[196:199], v241, s[4:5] offset:3136
	;; [unrolled: 1-line block ×4, first 2 shown]
	ds_load_b128 v[213:216], v217
	global_load_b128 v[228:231], v241, s[4:5] offset:7840
	v_dual_mov_b32 v16, v243 :: v_dual_mov_b32 v17, v244
	v_dual_mov_b32 v18, v245 :: v_dual_mov_b32 v19, v246
	;; [unrolled: 1-line block ×4, first 2 shown]
	v_mov_b32_e32 v24, v251
	s_wait_loadcnt_dscnt 0x500
	v_mul_f64_e32 v[0:1], v[215:216], v[203:204]
	v_mul_f64_e32 v[2:3], v[213:214], v[203:204]
	s_delay_alu instid0(VALU_DEP_2) | instskip(NEXT) | instid1(VALU_DEP_2)
	v_fma_f64 v[213:214], v[213:214], v[201:202], -v[0:1]
	v_fma_f64 v[215:216], v[215:216], v[201:202], v[2:3]
	global_load_b128 v[201:204], v241, s[4:5] offset:9408
	ds_store_b128 v217, v[213:216]
	ds_load_b128 v[213:216], v218 offset:1568
	ds_load_b128 v[232:235], v218 offset:10976
	;; [unrolled: 1-line block ×7, first 2 shown]
	s_wait_loadcnt_dscnt 0x506
	v_mul_f64_e32 v[0:1], v[215:216], v[194:195]
	v_mul_f64_e32 v[2:3], v[213:214], v[194:195]
	s_delay_alu instid0(VALU_DEP_2) | instskip(NEXT) | instid1(VALU_DEP_2)
	v_fma_f64 v[213:214], v[213:214], v[192:193], -v[0:1]
	v_fma_f64 v[215:216], v[215:216], v[192:193], v[2:3]
	ds_load_b128 v[192:195], v218 offset:3136
	s_wait_loadcnt_dscnt 0x400
	v_mul_f64_e32 v[0:1], v[194:195], v[198:199]
	v_mul_f64_e32 v[2:3], v[192:193], v[198:199]
	s_delay_alu instid0(VALU_DEP_2) | instskip(NEXT) | instid1(VALU_DEP_2)
	v_fma_f64 v[192:193], v[192:193], v[196:197], -v[0:1]
	v_fma_f64 v[194:195], v[194:195], v[196:197], v[2:3]
	ds_load_b128 v[196:199], v218 offset:4704
	;; [unrolled: 7-line block ×5, first 2 shown]
	s_wait_loadcnt_dscnt 0x0
	v_mul_f64_e32 v[0:1], v[230:231], v[203:204]
	v_mul_f64_e32 v[2:3], v[228:229], v[203:204]
	s_delay_alu instid0(VALU_DEP_2) | instskip(NEXT) | instid1(VALU_DEP_2)
	v_fma_f64 v[228:229], v[228:229], v[201:202], -v[0:1]
	v_fma_f64 v[230:231], v[230:231], v[201:202], v[2:3]
	global_load_b128 v[201:204], v241, s[4:5] offset:10976
	s_wait_loadcnt 0x0
	v_mul_f64_e32 v[0:1], v[234:235], v[203:204]
	v_mul_f64_e32 v[2:3], v[232:233], v[203:204]
	s_delay_alu instid0(VALU_DEP_2) | instskip(NEXT) | instid1(VALU_DEP_2)
	v_fma_f64 v[232:233], v[232:233], v[201:202], -v[0:1]
	v_fma_f64 v[234:235], v[234:235], v[201:202], v[2:3]
	global_load_b128 v[201:204], v241, s[4:5] offset:12544
	s_wait_loadcnt 0x0
	;; [unrolled: 7-line block ×6, first 2 shown]
	v_mul_f64_e32 v[0:1], v[221:222], v[203:204]
	v_mul_f64_e32 v[2:3], v[219:220], v[203:204]
	s_delay_alu instid0(VALU_DEP_2) | instskip(NEXT) | instid1(VALU_DEP_2)
	v_fma_f64 v[219:220], v[219:220], v[201:202], -v[0:1]
	v_fma_f64 v[221:222], v[221:222], v[201:202], v[2:3]
	global_load_b128 v[201:204], v241, s[4:5] offset:20384
	ds_load_b128 v[0:3], v218 offset:20384
	s_wait_loadcnt_dscnt 0x0
	v_mul_f64_e32 v[4:5], v[2:3], v[203:204]
	v_mul_f64_e32 v[6:7], v[0:1], v[203:204]
	s_delay_alu instid0(VALU_DEP_2) | instskip(NEXT) | instid1(VALU_DEP_2)
	v_fma_f64 v[0:1], v[0:1], v[201:202], -v[4:5]
	v_fma_f64 v[2:3], v[2:3], v[201:202], v[6:7]
	global_load_b128 v[201:204], v241, s[4:5] offset:21952
	ds_load_b128 v[4:7], v218 offset:21952
	s_wait_loadcnt_dscnt 0x0
	;; [unrolled: 8-line block ×3, first 2 shown]
	v_mul_f64_e32 v[223:224], v[10:11], v[203:204]
	v_mul_f64_e32 v[203:204], v[8:9], v[203:204]
	s_delay_alu instid0(VALU_DEP_2) | instskip(NEXT) | instid1(VALU_DEP_2)
	v_fma_f64 v[8:9], v[8:9], v[201:202], -v[223:224]
	v_fma_f64 v[10:11], v[10:11], v[201:202], v[203:204]
	global_load_b128 v[201:204], v241, s[4:5] offset:25088
	ds_load_b128 v[223:226], v218 offset:25088
	ds_store_b128 v218, v[213:216] offset:1568
	ds_store_b128 v218, v[192:195] offset:3136
	;; [unrolled: 1-line block ×9, first 2 shown]
	v_mov_b32_e32 v243, v16
	ds_store_b128 v218, v[247:250] offset:15680
	ds_store_b128 v218, v[251:254] offset:17248
	v_dual_mov_b32 v247, v20 :: v_dual_mov_b32 v246, v19
	v_dual_mov_b32 v251, v24 :: v_dual_mov_b32 v250, v23
	;; [unrolled: 1-line block ×4, first 2 shown]
	s_wait_loadcnt_dscnt 0xb
	v_mul_f64_e32 v[12:13], v[225:226], v[203:204]
	v_mul_f64_e32 v[14:15], v[223:224], v[203:204]
	s_delay_alu instid0(VALU_DEP_2) | instskip(NEXT) | instid1(VALU_DEP_2)
	v_fma_f64 v[223:224], v[223:224], v[201:202], -v[12:13]
	v_fma_f64 v[225:226], v[225:226], v[201:202], v[14:15]
	ds_store_b128 v218, v[219:222] offset:18816
	ds_store_b128 v218, v[0:3] offset:20384
	;; [unrolled: 1-line block ×5, first 2 shown]
.LBB0_9:
	s_wait_alu 0xfffe
	s_or_b32 exec_lo, exec_lo, s6
	global_wb scope:SCOPE_SE
	s_wait_dscnt 0x0
	s_barrier_signal -1
	s_barrier_wait -1
	global_inv scope:SCOPE_SE
	s_and_saveexec_b32 s4, vcc_lo
	s_cbranch_execz .LBB0_11
; %bb.10:
	ds_load_b128 v[136:139], v217
	ds_load_b128 v[140:143], v217 offset:1568
	ds_load_b128 v[144:147], v217 offset:3136
	;; [unrolled: 1-line block ×14, first 2 shown]
	s_wait_dscnt 0x0
	scratch_store_b128 off, v[0:3], off     ; 16-byte Folded Spill
	ds_load_b128 v[248:251], v217 offset:23520
	ds_load_b128 v[244:247], v217 offset:25088
.LBB0_11:
	s_wait_alu 0xfffe
	s_or_b32 exec_lo, exec_lo, s4
	global_wb scope:SCOPE_SE
	s_wait_storecnt_dscnt 0x0
	s_barrier_signal -1
	s_barrier_wait -1
	global_inv scope:SCOPE_SE
	s_and_saveexec_b32 s33, vcc_lo
	s_cbranch_execz .LBB0_13
; %bb.12:
	v_add_f64_e32 v[0:1], v[138:139], v[142:143]
	v_add_f64_e32 v[2:3], v[136:137], v[140:141]
	scratch_load_b128 v[4:7], off, off th:TH_LOAD_LU ; 16-byte Folded Reload
	v_add_f64_e64 v[213:214], v[140:141], -v[244:245]
	s_mov_b32 s10, 0xacd6c6b4
	s_mov_b32 s11, 0xbfc7851a
	v_add_f64_e64 v[194:195], v[188:189], -v[184:185]
	v_add_f64_e64 v[207:208], v[144:145], -v[248:249]
	v_add_f64_e32 v[211:212], v[142:143], v[246:247]
	s_mov_b32 s34, 0x5d8e7cdc
	s_mov_b32 s4, 0x7faef3
	s_mov_b32 s35, 0x3fd71e95
	s_mov_b32 s5, 0xbfef7484
	v_add_f64_e32 v[201:202], v[146:147], v[250:251]
	v_add_f64_e64 v[215:216], v[142:143], -v[246:247]
	s_mov_b32 s26, 0x370991
	s_mov_b32 s27, 0x3fedd6d0
	v_add_f64_e64 v[205:206], v[146:147], -v[250:251]
	v_add_f64_e32 v[209:210], v[140:141], v[244:245]
	v_add_f64_e32 v[203:204], v[144:145], v[248:249]
	s_mov_b32 s18, 0x4363dd80
	s_mov_b32 s19, 0xbfe0d888
	v_add_f64_e32 v[192:193], v[190:191], v[186:187]
	s_mov_b32 s6, 0x910ea3b9
	s_mov_b32 s7, 0xbfeb34fa
	;; [unrolled: 1-line block ×15, first 2 shown]
	v_add_f64_e32 v[0:1], v[0:1], v[146:147]
	v_add_f64_e32 v[2:3], v[2:3], v[144:145]
	s_mov_b32 s31, 0xbfeec746
	s_mov_b32 s20, 0xc61f0d01
	;; [unrolled: 1-line block ×5, first 2 shown]
	s_wait_alu 0xfffe
	v_mul_f64_e32 v[8:9], s[34:35], v[207:208]
	v_mul_f64_e32 v[225:226], s[54:55], v[194:195]
	s_mov_b32 s28, 0x3259b75e
	s_mov_b32 s29, 0x3fb79ee6
	;; [unrolled: 1-line block ×5, first 2 shown]
	v_mul_f64_e32 v[10:11], s[10:11], v[215:216]
	s_mov_b32 s52, s24
	s_mov_b32 s41, 0xbfd71e95
	v_mul_f64_e32 v[12:13], s[34:35], v[205:206]
	s_mov_b32 s40, s34
	v_mul_f64_e32 v[234:235], s[30:31], v[194:195]
	s_mov_b32 s47, 0x3feec746
	s_mov_b32 s46, s30
	;; [unrolled: 1-line block ×4, first 2 shown]
	v_mov_b32_e32 v40, v243
	s_mov_b32 s51, 0x3fe0d888
	s_mov_b32 s50, s18
	;; [unrolled: 1-line block ×4, first 2 shown]
	v_mul_f64_e32 v[253:254], s[24:25], v[194:195]
	v_mul_f64_e32 v[20:21], s[42:43], v[194:195]
	;; [unrolled: 1-line block ×4, first 2 shown]
	v_add_f64_e32 v[0:1], v[0:1], v[150:151]
	v_add_f64_e32 v[2:3], v[2:3], v[148:149]
	v_fma_f64 v[22:23], v[192:193], s[16:17], v[20:21]
	v_fma_f64 v[30:31], v[192:193], s[6:7], v[28:29]
	;; [unrolled: 1-line block ×3, first 2 shown]
	v_add_f64_e32 v[0:1], v[0:1], v[154:155]
	v_add_f64_e32 v[2:3], v[2:3], v[152:153]
	s_delay_alu instid0(VALU_DEP_2) | instskip(NEXT) | instid1(VALU_DEP_2)
	v_add_f64_e32 v[0:1], v[0:1], v[158:159]
	v_add_f64_e32 v[2:3], v[2:3], v[156:157]
	s_delay_alu instid0(VALU_DEP_2) | instskip(NEXT) | instid1(VALU_DEP_2)
	v_add_f64_e32 v[0:1], v[0:1], v[170:171]
	v_add_f64_e32 v[2:3], v[2:3], v[168:169]
	s_delay_alu instid0(VALU_DEP_2) | instskip(NEXT) | instid1(VALU_DEP_2)
	v_add_f64_e32 v[0:1], v[0:1], v[162:163]
	v_add_f64_e32 v[2:3], v[2:3], v[160:161]
	s_delay_alu instid0(VALU_DEP_2) | instskip(NEXT) | instid1(VALU_DEP_2)
	v_add_f64_e32 v[0:1], v[0:1], v[190:191]
	v_add_f64_e32 v[2:3], v[2:3], v[188:189]
	;; [unrolled: 1-line block ×3, first 2 shown]
	v_add_f64_e64 v[190:191], v[190:191], -v[186:187]
	s_delay_alu instid0(VALU_DEP_4) | instskip(NEXT) | instid1(VALU_DEP_4)
	v_add_f64_e32 v[0:1], v[0:1], v[186:187]
	v_add_f64_e32 v[2:3], v[2:3], v[184:185]
	;; [unrolled: 1-line block ×3, first 2 shown]
	v_add_f64_e64 v[162:163], v[162:163], -v[182:183]
	v_add_f64_e64 v[186:187], v[160:161], -v[180:181]
	v_add_f64_e32 v[160:161], v[160:161], v[180:181]
	s_wait_loadcnt 0x0
	v_add_f64_e64 v[198:199], v[148:149], -v[4:5]
	v_add_f64_e64 v[196:197], v[150:151], -v[6:7]
	v_add_f64_e32 v[0:1], v[0:1], v[182:183]
	v_add_f64_e32 v[2:3], v[2:3], v[180:181]
	v_add_f64_e64 v[182:183], v[168:169], -v[176:177]
	v_add_f64_e32 v[168:169], v[168:169], v[176:177]
	v_add_f64_e32 v[180:181], v[170:171], v[178:179]
	v_add_f64_e64 v[170:171], v[170:171], -v[178:179]
	v_mul_f64_e32 v[221:222], s[30:31], v[186:187]
	v_mul_f64_e32 v[223:224], s[30:31], v[162:163]
	;; [unrolled: 1-line block ×5, first 2 shown]
	s_wait_alu 0xfffe
	v_mul_f64_e32 v[16:17], s[52:53], v[186:187]
	v_mul_f64_e32 v[24:25], s[36:37], v[186:187]
	;; [unrolled: 1-line block ×4, first 2 shown]
	v_add_f64_e32 v[0:1], v[0:1], v[178:179]
	v_add_f64_e32 v[2:3], v[2:3], v[176:177]
	;; [unrolled: 1-line block ×3, first 2 shown]
	v_add_f64_e64 v[158:159], v[158:159], -v[174:175]
	v_add_f64_e64 v[178:179], v[156:157], -v[172:173]
	v_add_f64_e32 v[156:157], v[156:157], v[172:173]
	v_mul_f64_e32 v[219:220], s[38:39], v[170:171]
	v_mul_f64_e32 v[32:33], s[46:47], v[170:171]
	v_fma_f64 v[18:19], v[184:185], s[14:15], v[16:17]
	v_fma_f64 v[26:27], v[184:185], s[28:29], v[24:25]
	v_add_f64_e32 v[0:1], v[0:1], v[174:175]
	v_add_f64_e32 v[2:3], v[2:3], v[172:173]
	v_add_f64_e64 v[174:175], v[152:153], -v[164:165]
	v_add_f64_e32 v[152:153], v[152:153], v[164:165]
	v_add_f64_e32 v[172:173], v[154:155], v[166:167]
	v_add_f64_e64 v[154:155], v[154:155], -v[166:167]
	v_mul_f64_e32 v[146:147], s[24:25], v[178:179]
	v_fma_f64 v[34:35], v[168:169], s[20:21], -v[32:33]
	v_add_f64_e32 v[0:1], v[0:1], v[166:167]
	v_add_f64_e32 v[2:3], v[2:3], v[164:165]
	;; [unrolled: 1-line block ×4, first 2 shown]
	v_mul_f64_e32 v[142:143], s[42:43], v[174:175]
	v_mul_f64_e32 v[144:145], s[42:43], v[154:155]
	;; [unrolled: 1-line block ×4, first 2 shown]
	v_add_f64_e32 v[0:1], v[0:1], v[6:7]
	v_add_f64_e32 v[2:3], v[2:3], v[4:5]
	v_fma_f64 v[6:7], v[203:204], s[26:27], -v[12:13]
	s_delay_alu instid0(VALU_DEP_3) | instskip(NEXT) | instid1(VALU_DEP_3)
	v_add_f64_e32 v[0:1], v[0:1], v[250:251]
	v_add_f64_e32 v[2:3], v[2:3], v[248:249]
	v_mul_f64_e32 v[249:250], s[40:41], v[186:187]
	v_mul_f64_e32 v[251:252], s[40:41], v[162:163]
	s_delay_alu instid0(VALU_DEP_4) | instskip(NEXT) | instid1(VALU_DEP_4)
	v_add_f64_e32 v[4:5], v[0:1], v[246:247]
	v_add_f64_e32 v[2:3], v[2:3], v[244:245]
	v_mul_f64_e32 v[0:1], s[10:11], v[213:214]
	v_mul_f64_e32 v[243:244], s[10:11], v[162:163]
	;; [unrolled: 1-line block ×3, first 2 shown]
	scratch_store_b128 off, v[2:5], off     ; 16-byte Folded Spill
	v_fma_f64 v[2:3], v[211:212], s[4:5], v[0:1]
	v_fma_f64 v[4:5], v[201:202], s[26:27], v[8:9]
	v_fma_f64 v[0:1], v[211:212], s[4:5], -v[0:1]
	v_fma_f64 v[8:9], v[201:202], s[26:27], -v[8:9]
	s_delay_alu instid0(VALU_DEP_4) | instskip(NEXT) | instid1(VALU_DEP_3)
	v_add_f64_e32 v[2:3], v[138:139], v[2:3]
	v_add_f64_e32 v[0:1], v[138:139], v[0:1]
	s_delay_alu instid0(VALU_DEP_2) | instskip(SKIP_1) | instid1(VALU_DEP_3)
	v_add_f64_e32 v[2:3], v[4:5], v[2:3]
	v_fma_f64 v[4:5], v[209:210], s[4:5], -v[10:11]
	v_add_f64_e32 v[0:1], v[8:9], v[0:1]
	v_fma_f64 v[8:9], v[209:210], s[4:5], v[10:11]
	v_fma_f64 v[10:11], v[203:204], s[26:27], v[12:13]
	v_mul_f64_e32 v[12:13], s[38:39], v[207:208]
	v_add_f64_e32 v[4:5], v[136:137], v[4:5]
	s_delay_alu instid0(VALU_DEP_4) | instskip(NEXT) | instid1(VALU_DEP_2)
	v_add_f64_e32 v[8:9], v[136:137], v[8:9]
	v_add_f64_e32 v[4:5], v[6:7], v[4:5]
	v_fma_f64 v[6:7], v[166:167], s[6:7], v[14:15]
	s_delay_alu instid0(VALU_DEP_3)
	v_add_f64_e32 v[8:9], v[10:11], v[8:9]
	v_fma_f64 v[10:11], v[166:167], s[6:7], -v[14:15]
	v_fma_f64 v[14:15], v[201:202], s[22:23], v[12:13]
	v_fma_f64 v[12:13], v[201:202], s[22:23], -v[12:13]
	v_add_f64_e32 v[2:3], v[6:7], v[2:3]
	v_fma_f64 v[6:7], v[164:165], s[6:7], -v[140:141]
	v_add_f64_e32 v[0:1], v[10:11], v[0:1]
	v_fma_f64 v[10:11], v[164:165], s[6:7], v[140:141]
	s_delay_alu instid0(VALU_DEP_3) | instskip(SKIP_1) | instid1(VALU_DEP_3)
	v_add_f64_e32 v[4:5], v[6:7], v[4:5]
	v_fma_f64 v[6:7], v[172:173], s[16:17], v[142:143]
	v_add_f64_e32 v[8:9], v[10:11], v[8:9]
	v_fma_f64 v[10:11], v[172:173], s[16:17], -v[142:143]
	s_delay_alu instid0(VALU_DEP_3) | instskip(SKIP_1) | instid1(VALU_DEP_3)
	v_add_f64_e32 v[2:3], v[6:7], v[2:3]
	v_fma_f64 v[6:7], v[152:153], s[16:17], -v[144:145]
	v_add_f64_e32 v[0:1], v[10:11], v[0:1]
	v_fma_f64 v[10:11], v[152:153], s[16:17], v[144:145]
	v_mul_f64_e32 v[144:145], s[38:39], v[205:206]
	s_delay_alu instid0(VALU_DEP_4) | instskip(SKIP_1) | instid1(VALU_DEP_4)
	v_add_f64_e32 v[4:5], v[6:7], v[4:5]
	v_fma_f64 v[6:7], v[176:177], s[14:15], v[146:147]
	v_add_f64_e32 v[8:9], v[10:11], v[8:9]
	v_fma_f64 v[10:11], v[176:177], s[14:15], -v[146:147]
	v_fma_f64 v[142:143], v[203:204], s[22:23], -v[144:145]
	v_mul_f64_e32 v[146:147], s[36:37], v[198:199]
	v_add_f64_e32 v[2:3], v[6:7], v[2:3]
	v_fma_f64 v[6:7], v[156:157], s[14:15], -v[148:149]
	v_add_f64_e32 v[0:1], v[10:11], v[0:1]
	v_fma_f64 v[10:11], v[156:157], s[14:15], v[148:149]
	v_mul_f64_e32 v[148:149], s[36:37], v[196:197]
	s_delay_alu instid0(VALU_DEP_4) | instskip(SKIP_1) | instid1(VALU_DEP_4)
	v_add_f64_e32 v[4:5], v[6:7], v[4:5]
	v_fma_f64 v[6:7], v[180:181], s[22:23], v[150:151]
	v_add_f64_e32 v[8:9], v[10:11], v[8:9]
	v_fma_f64 v[10:11], v[180:181], s[22:23], -v[150:151]
	v_mul_f64_e32 v[150:151], s[52:53], v[174:175]
	s_delay_alu instid0(VALU_DEP_4) | instskip(SKIP_1) | instid1(VALU_DEP_4)
	v_add_f64_e32 v[2:3], v[6:7], v[2:3]
	v_fma_f64 v[6:7], v[168:169], s[22:23], -v[219:220]
	v_add_f64_e32 v[0:1], v[10:11], v[0:1]
	v_fma_f64 v[10:11], v[168:169], s[22:23], v[219:220]
	v_mul_f64_e32 v[219:220], s[52:53], v[154:155]
	s_delay_alu instid0(VALU_DEP_4) | instskip(SKIP_1) | instid1(VALU_DEP_4)
	v_add_f64_e32 v[4:5], v[6:7], v[4:5]
	v_fma_f64 v[6:7], v[184:185], s[20:21], v[221:222]
	v_add_f64_e32 v[8:9], v[10:11], v[8:9]
	v_fma_f64 v[10:11], v[184:185], s[20:21], -v[221:222]
	v_mul_f64_e32 v[221:222], s[40:41], v[178:179]
	s_delay_alu instid0(VALU_DEP_4) | instskip(SKIP_1) | instid1(VALU_DEP_4)
	;; [unrolled: 12-line block ×3, first 2 shown]
	v_add_f64_e32 v[6:7], v[6:7], v[2:3]
	v_mul_f64_e32 v[2:3], s[54:55], v[190:191]
	v_add_f64_e32 v[10:11], v[10:11], v[0:1]
	v_mul_f64_e32 v[0:1], s[18:19], v[213:214]
	s_delay_alu instid0(VALU_DEP_3) | instskip(SKIP_1) | instid1(VALU_DEP_2)
	v_fma_f64 v[228:229], v[188:189], s[28:29], -v[2:3]
	v_fma_f64 v[2:3], v[188:189], s[28:29], v[2:3]
	v_add_f64_e32 v[4:5], v[228:229], v[4:5]
	s_delay_alu instid0(VALU_DEP_2)
	v_add_f64_e32 v[8:9], v[2:3], v[8:9]
	v_fma_f64 v[2:3], v[211:212], s[6:7], v[0:1]
	v_fma_f64 v[0:1], v[211:212], s[6:7], -v[0:1]
	v_mul_f64_e32 v[228:229], s[10:11], v[170:171]
	scratch_store_b128 off, v[4:7], off offset:164 ; 16-byte Folded Spill
	v_add_f64_e32 v[2:3], v[138:139], v[2:3]
	v_add_f64_e32 v[0:1], v[138:139], v[0:1]
	s_delay_alu instid0(VALU_DEP_2) | instskip(SKIP_1) | instid1(VALU_DEP_3)
	v_add_f64_e32 v[2:3], v[14:15], v[2:3]
	v_mul_f64_e32 v[14:15], s[18:19], v[215:216]
	v_add_f64_e32 v[0:1], v[12:13], v[0:1]
	s_delay_alu instid0(VALU_DEP_2) | instskip(SKIP_2) | instid1(VALU_DEP_3)
	v_fma_f64 v[140:141], v[209:210], s[6:7], -v[14:15]
	v_fma_f64 v[12:13], v[209:210], s[6:7], v[14:15]
	v_fma_f64 v[14:15], v[203:204], s[22:23], v[144:145]
	v_add_f64_e32 v[140:141], v[136:137], v[140:141]
	s_delay_alu instid0(VALU_DEP_3) | instskip(NEXT) | instid1(VALU_DEP_2)
	v_add_f64_e32 v[12:13], v[136:137], v[12:13]
	v_add_f64_e32 v[140:141], v[142:143], v[140:141]
	v_fma_f64 v[142:143], v[166:167], s[28:29], v[146:147]
	s_delay_alu instid0(VALU_DEP_3) | instskip(SKIP_1) | instid1(VALU_DEP_3)
	v_add_f64_e32 v[12:13], v[14:15], v[12:13]
	v_fma_f64 v[14:15], v[166:167], s[28:29], -v[146:147]
	v_add_f64_e32 v[2:3], v[142:143], v[2:3]
	v_fma_f64 v[142:143], v[164:165], s[28:29], -v[148:149]
	s_delay_alu instid0(VALU_DEP_3) | instskip(SKIP_1) | instid1(VALU_DEP_3)
	v_add_f64_e32 v[0:1], v[14:15], v[0:1]
	v_fma_f64 v[14:15], v[164:165], s[28:29], v[148:149]
	v_add_f64_e32 v[140:141], v[142:143], v[140:141]
	v_fma_f64 v[142:143], v[172:173], s[14:15], v[150:151]
	s_delay_alu instid0(VALU_DEP_3) | instskip(SKIP_1) | instid1(VALU_DEP_3)
	v_add_f64_e32 v[12:13], v[14:15], v[12:13]
	v_fma_f64 v[14:15], v[172:173], s[14:15], -v[150:151]
	v_add_f64_e32 v[2:3], v[142:143], v[2:3]
	v_fma_f64 v[142:143], v[152:153], s[14:15], -v[219:220]
	s_delay_alu instid0(VALU_DEP_3) | instskip(SKIP_2) | instid1(VALU_DEP_4)
	v_add_f64_e32 v[0:1], v[14:15], v[0:1]
	v_fma_f64 v[14:15], v[152:153], s[14:15], v[219:220]
	v_mul_f64_e32 v[219:220], s[46:47], v[205:206]
	v_add_f64_e32 v[140:141], v[142:143], v[140:141]
	v_fma_f64 v[142:143], v[176:177], s[26:27], v[221:222]
	s_delay_alu instid0(VALU_DEP_4)
	v_add_f64_e32 v[12:13], v[14:15], v[12:13]
	v_fma_f64 v[14:15], v[176:177], s[26:27], -v[221:222]
	v_fma_f64 v[150:151], v[203:204], s[20:21], -v[219:220]
	v_mul_f64_e32 v[221:222], s[40:41], v[198:199]
	v_add_f64_e32 v[2:3], v[142:143], v[2:3]
	v_fma_f64 v[142:143], v[156:157], s[26:27], -v[223:224]
	v_add_f64_e32 v[0:1], v[14:15], v[0:1]
	v_fma_f64 v[14:15], v[156:157], s[26:27], v[223:224]
	v_mul_f64_e32 v[223:224], s[40:41], v[196:197]
	s_delay_alu instid0(VALU_DEP_4) | instskip(SKIP_1) | instid1(VALU_DEP_4)
	v_add_f64_e32 v[140:141], v[142:143], v[140:141]
	v_fma_f64 v[142:143], v[180:181], s[4:5], v[225:226]
	v_add_f64_e32 v[12:13], v[14:15], v[12:13]
	v_fma_f64 v[14:15], v[180:181], s[4:5], -v[225:226]
	v_mul_f64_e32 v[225:226], s[18:19], v[174:175]
	s_delay_alu instid0(VALU_DEP_4) | instskip(SKIP_1) | instid1(VALU_DEP_4)
	v_add_f64_e32 v[2:3], v[142:143], v[2:3]
	v_fma_f64 v[142:143], v[168:169], s[4:5], -v[228:229]
	v_add_f64_e32 v[0:1], v[14:15], v[0:1]
	v_fma_f64 v[14:15], v[168:169], s[4:5], v[228:229]
	v_mul_f64_e32 v[228:229], s[18:19], v[154:155]
	s_delay_alu instid0(VALU_DEP_4) | instskip(SKIP_1) | instid1(VALU_DEP_4)
	v_add_f64_e32 v[140:141], v[142:143], v[140:141]
	v_fma_f64 v[142:143], v[184:185], s[16:17], v[230:231]
	v_add_f64_e32 v[12:13], v[14:15], v[12:13]
	v_fma_f64 v[14:15], v[184:185], s[16:17], -v[230:231]
	v_mul_f64_e32 v[230:231], s[54:55], v[178:179]
	s_delay_alu instid0(VALU_DEP_4) | instskip(SKIP_1) | instid1(VALU_DEP_4)
	;; [unrolled: 12-line block ×3, first 2 shown]
	v_add_f64_e32 v[142:143], v[142:143], v[2:3]
	v_mul_f64_e32 v[2:3], s[30:31], v[190:191]
	v_add_f64_e32 v[146:147], v[14:15], v[0:1]
	v_mul_f64_e32 v[0:1], s[24:25], v[213:214]
	s_delay_alu instid0(VALU_DEP_3) | instskip(SKIP_1) | instid1(VALU_DEP_2)
	v_fma_f64 v[236:237], v[188:189], s[20:21], -v[2:3]
	v_fma_f64 v[2:3], v[188:189], s[20:21], v[2:3]
	v_add_f64_e32 v[140:141], v[236:237], v[140:141]
	s_delay_alu instid0(VALU_DEP_2) | instskip(SKIP_4) | instid1(VALU_DEP_4)
	v_add_f64_e32 v[144:145], v[2:3], v[12:13]
	v_fma_f64 v[2:3], v[211:212], s[14:15], v[0:1]
	v_mul_f64_e32 v[12:13], s[46:47], v[207:208]
	v_fma_f64 v[0:1], v[211:212], s[14:15], -v[0:1]
	v_mul_f64_e32 v[236:237], s[44:45], v[170:171]
	v_add_f64_e32 v[2:3], v[138:139], v[2:3]
	s_delay_alu instid0(VALU_DEP_4) | instskip(SKIP_2) | instid1(VALU_DEP_3)
	v_fma_f64 v[14:15], v[201:202], s[20:21], v[12:13]
	v_fma_f64 v[12:13], v[201:202], s[20:21], -v[12:13]
	v_add_f64_e32 v[0:1], v[138:139], v[0:1]
	v_add_f64_e32 v[2:3], v[14:15], v[2:3]
	v_mul_f64_e32 v[14:15], s[24:25], v[215:216]
	s_delay_alu instid0(VALU_DEP_3) | instskip(NEXT) | instid1(VALU_DEP_2)
	v_add_f64_e32 v[0:1], v[12:13], v[0:1]
	v_fma_f64 v[148:149], v[209:210], s[14:15], -v[14:15]
	v_fma_f64 v[12:13], v[209:210], s[14:15], v[14:15]
	v_fma_f64 v[14:15], v[203:204], s[20:21], v[219:220]
	s_delay_alu instid0(VALU_DEP_3) | instskip(NEXT) | instid1(VALU_DEP_3)
	v_add_f64_e32 v[148:149], v[136:137], v[148:149]
	v_add_f64_e32 v[12:13], v[136:137], v[12:13]
	s_delay_alu instid0(VALU_DEP_2) | instskip(SKIP_1) | instid1(VALU_DEP_3)
	v_add_f64_e32 v[148:149], v[150:151], v[148:149]
	v_fma_f64 v[150:151], v[166:167], s[26:27], v[221:222]
	v_add_f64_e32 v[12:13], v[14:15], v[12:13]
	v_fma_f64 v[14:15], v[166:167], s[26:27], -v[221:222]
	s_delay_alu instid0(VALU_DEP_3) | instskip(SKIP_1) | instid1(VALU_DEP_3)
	v_add_f64_e32 v[2:3], v[150:151], v[2:3]
	v_fma_f64 v[150:151], v[164:165], s[26:27], -v[223:224]
	v_add_f64_e32 v[0:1], v[14:15], v[0:1]
	v_fma_f64 v[14:15], v[164:165], s[26:27], v[223:224]
	s_delay_alu instid0(VALU_DEP_3) | instskip(SKIP_1) | instid1(VALU_DEP_3)
	v_add_f64_e32 v[148:149], v[150:151], v[148:149]
	v_fma_f64 v[150:151], v[172:173], s[6:7], v[225:226]
	v_add_f64_e32 v[12:13], v[14:15], v[12:13]
	v_fma_f64 v[14:15], v[172:173], s[6:7], -v[225:226]
	s_delay_alu instid0(VALU_DEP_3) | instskip(SKIP_1) | instid1(VALU_DEP_3)
	v_add_f64_e32 v[2:3], v[150:151], v[2:3]
	v_fma_f64 v[150:151], v[152:153], s[6:7], -v[228:229]
	v_add_f64_e32 v[0:1], v[14:15], v[0:1]
	v_fma_f64 v[14:15], v[152:153], s[6:7], v[228:229]
	v_mul_f64_e32 v[228:229], s[50:51], v[205:206]
	s_delay_alu instid0(VALU_DEP_4) | instskip(SKIP_1) | instid1(VALU_DEP_4)
	v_add_f64_e32 v[148:149], v[150:151], v[148:149]
	v_fma_f64 v[150:151], v[176:177], s[28:29], v[230:231]
	v_add_f64_e32 v[12:13], v[14:15], v[12:13]
	v_fma_f64 v[14:15], v[176:177], s[28:29], -v[230:231]
	v_fma_f64 v[225:226], v[203:204], s[6:7], -v[228:229]
	v_mul_f64_e32 v[230:231], s[42:43], v[198:199]
	v_fma_f64 v[6:7], v[203:204], s[6:7], v[228:229]
	v_add_f64_e32 v[2:3], v[150:151], v[2:3]
	v_fma_f64 v[150:151], v[156:157], s[28:29], -v[232:233]
	v_add_f64_e32 v[0:1], v[14:15], v[0:1]
	v_fma_f64 v[14:15], v[156:157], s[28:29], v[232:233]
	v_mul_f64_e32 v[232:233], s[42:43], v[196:197]
	s_delay_alu instid0(VALU_DEP_4) | instskip(SKIP_1) | instid1(VALU_DEP_4)
	v_add_f64_e32 v[148:149], v[150:151], v[148:149]
	v_fma_f64 v[150:151], v[180:181], s[16:17], v[234:235]
	v_add_f64_e32 v[12:13], v[14:15], v[12:13]
	v_fma_f64 v[14:15], v[180:181], s[16:17], -v[234:235]
	v_mul_f64_e32 v[234:235], s[48:49], v[174:175]
	s_delay_alu instid0(VALU_DEP_4) | instskip(SKIP_1) | instid1(VALU_DEP_4)
	v_add_f64_e32 v[2:3], v[150:151], v[2:3]
	v_fma_f64 v[150:151], v[168:169], s[16:17], -v[236:237]
	v_add_f64_e32 v[0:1], v[14:15], v[0:1]
	v_fma_f64 v[14:15], v[168:169], s[16:17], v[236:237]
	v_mul_f64_e32 v[236:237], s[48:49], v[154:155]
	s_delay_alu instid0(VALU_DEP_4) | instskip(SKIP_1) | instid1(VALU_DEP_4)
	v_add_f64_e32 v[148:149], v[150:151], v[148:149]
	v_fma_f64 v[150:151], v[184:185], s[4:5], v[238:239]
	v_add_f64_e32 v[12:13], v[14:15], v[12:13]
	v_fma_f64 v[14:15], v[184:185], s[4:5], -v[238:239]
	v_mul_f64_e32 v[238:239], s[10:11], v[178:179]
	s_delay_alu instid0(VALU_DEP_4) | instskip(SKIP_1) | instid1(VALU_DEP_4)
	v_add_f64_e32 v[2:3], v[150:151], v[2:3]
	v_fma_f64 v[150:151], v[160:161], s[4:5], -v[243:244]
	v_add_f64_e32 v[0:1], v[14:15], v[0:1]
	v_fma_f64 v[14:15], v[160:161], s[4:5], v[243:244]
	v_mul_f64_e32 v[243:244], s[10:11], v[158:159]
	s_delay_alu instid0(VALU_DEP_4) | instskip(SKIP_1) | instid1(VALU_DEP_4)
	v_add_f64_e32 v[148:149], v[150:151], v[148:149]
	v_fma_f64 v[150:151], v[192:193], s[22:23], v[245:246]
	v_add_f64_e32 v[12:13], v[14:15], v[12:13]
	v_fma_f64 v[14:15], v[192:193], s[22:23], -v[245:246]
	v_mul_f64_e32 v[245:246], s[54:55], v[182:183]
	s_delay_alu instid0(VALU_DEP_4) | instskip(SKIP_1) | instid1(VALU_DEP_4)
	v_add_f64_e32 v[150:151], v[150:151], v[2:3]
	v_mul_f64_e32 v[2:3], s[38:39], v[190:191]
	v_add_f64_e32 v[221:222], v[14:15], v[0:1]
	v_mul_f64_e32 v[0:1], s[30:31], v[213:214]
	s_delay_alu instid0(VALU_DEP_3) | instskip(SKIP_1) | instid1(VALU_DEP_2)
	v_fma_f64 v[247:248], v[188:189], s[22:23], -v[2:3]
	v_fma_f64 v[2:3], v[188:189], s[22:23], v[2:3]
	v_add_f64_e32 v[148:149], v[247:248], v[148:149]
	s_delay_alu instid0(VALU_DEP_2) | instskip(SKIP_4) | instid1(VALU_DEP_4)
	v_add_f64_e32 v[219:220], v[2:3], v[12:13]
	v_fma_f64 v[2:3], v[211:212], s[20:21], v[0:1]
	v_mul_f64_e32 v[12:13], s[50:51], v[207:208]
	v_mul_f64_e32 v[247:248], s[54:55], v[170:171]
	v_fma_f64 v[0:1], v[211:212], s[20:21], -v[0:1]
	v_add_f64_e32 v[2:3], v[138:139], v[2:3]
	s_delay_alu instid0(VALU_DEP_4) | instskip(NEXT) | instid1(VALU_DEP_3)
	v_fma_f64 v[14:15], v[201:202], s[6:7], v[12:13]
	v_add_f64_e32 v[0:1], v[138:139], v[0:1]
	s_delay_alu instid0(VALU_DEP_2) | instskip(SKIP_1) | instid1(VALU_DEP_1)
	v_add_f64_e32 v[2:3], v[14:15], v[2:3]
	v_mul_f64_e32 v[14:15], s[30:31], v[215:216]
	v_fma_f64 v[223:224], v[209:210], s[20:21], -v[14:15]
	s_delay_alu instid0(VALU_DEP_1) | instskip(NEXT) | instid1(VALU_DEP_1)
	v_add_f64_e32 v[223:224], v[136:137], v[223:224]
	v_add_f64_e32 v[223:224], v[225:226], v[223:224]
	v_fma_f64 v[225:226], v[166:167], s[16:17], v[230:231]
	s_delay_alu instid0(VALU_DEP_1) | instskip(SKIP_1) | instid1(VALU_DEP_1)
	v_add_f64_e32 v[2:3], v[225:226], v[2:3]
	v_fma_f64 v[225:226], v[164:165], s[16:17], -v[232:233]
	v_add_f64_e32 v[223:224], v[225:226], v[223:224]
	v_fma_f64 v[225:226], v[172:173], s[22:23], v[234:235]
	s_delay_alu instid0(VALU_DEP_1) | instskip(SKIP_1) | instid1(VALU_DEP_1)
	v_add_f64_e32 v[2:3], v[225:226], v[2:3]
	v_fma_f64 v[225:226], v[152:153], s[22:23], -v[236:237]
	;; [unrolled: 5-line block ×5, first 2 shown]
	v_add_f64_e32 v[223:224], v[225:226], v[223:224]
	v_fma_f64 v[225:226], v[192:193], s[14:15], v[253:254]
	s_delay_alu instid0(VALU_DEP_1) | instskip(SKIP_1) | instid1(VALU_DEP_1)
	v_add_f64_e32 v[225:226], v[225:226], v[2:3]
	v_mul_f64_e32 v[2:3], s[24:25], v[190:191]
	v_fma_f64 v[4:5], v[188:189], s[14:15], -v[2:3]
	v_fma_f64 v[2:3], v[188:189], s[14:15], v[2:3]
	s_delay_alu instid0(VALU_DEP_2) | instskip(SKIP_1) | instid1(VALU_DEP_1)
	v_add_f64_e32 v[223:224], v[4:5], v[223:224]
	v_fma_f64 v[4:5], v[201:202], s[6:7], -v[12:13]
	v_add_f64_e32 v[0:1], v[4:5], v[0:1]
	v_fma_f64 v[4:5], v[209:210], s[20:21], v[14:15]
	v_mul_f64_e32 v[14:15], s[10:11], v[205:206]
	s_delay_alu instid0(VALU_DEP_2) | instskip(NEXT) | instid1(VALU_DEP_1)
	v_add_f64_e32 v[4:5], v[136:137], v[4:5]
	v_add_f64_e32 v[4:5], v[6:7], v[4:5]
	v_fma_f64 v[6:7], v[166:167], s[16:17], -v[230:231]
	s_delay_alu instid0(VALU_DEP_1) | instskip(SKIP_2) | instid1(VALU_DEP_2)
	v_add_f64_e32 v[0:1], v[6:7], v[0:1]
	v_fma_f64 v[6:7], v[164:165], s[16:17], v[232:233]
	v_fma_f64 v[232:233], v[203:204], s[4:5], -v[14:15]
	v_add_f64_e32 v[4:5], v[6:7], v[4:5]
	v_fma_f64 v[6:7], v[172:173], s[22:23], -v[234:235]
	s_delay_alu instid0(VALU_DEP_1) | instskip(SKIP_2) | instid1(VALU_DEP_2)
	v_add_f64_e32 v[0:1], v[6:7], v[0:1]
	v_fma_f64 v[6:7], v[152:153], s[22:23], v[236:237]
	v_mul_f64_e32 v[236:237], s[46:47], v[198:199]
	v_add_f64_e32 v[4:5], v[6:7], v[4:5]
	v_fma_f64 v[6:7], v[176:177], s[4:5], -v[238:239]
	v_mul_f64_e32 v[238:239], s[46:47], v[196:197]
	s_delay_alu instid0(VALU_DEP_2) | instskip(SKIP_2) | instid1(VALU_DEP_2)
	v_add_f64_e32 v[0:1], v[6:7], v[0:1]
	v_fma_f64 v[6:7], v[156:157], s[4:5], v[243:244]
	v_mul_f64_e32 v[243:244], s[34:35], v[174:175]
	v_add_f64_e32 v[4:5], v[6:7], v[4:5]
	v_fma_f64 v[6:7], v[180:181], s[28:29], -v[245:246]
	v_mul_f64_e32 v[245:246], s[34:35], v[154:155]
	s_delay_alu instid0(VALU_DEP_2) | instskip(SKIP_2) | instid1(VALU_DEP_2)
	;; [unrolled: 7-line block ×3, first 2 shown]
	v_add_f64_e32 v[0:1], v[6:7], v[0:1]
	v_fma_f64 v[6:7], v[160:161], s[26:27], v[251:252]
	v_mul_f64_e32 v[251:252], s[18:19], v[182:183]
	v_add_f64_e32 v[4:5], v[6:7], v[4:5]
	v_fma_f64 v[6:7], v[192:193], s[14:15], -v[253:254]
	v_mul_f64_e32 v[253:254], s[18:19], v[170:171]
	s_delay_alu instid0(VALU_DEP_3) | instskip(NEXT) | instid1(VALU_DEP_3)
	v_add_f64_e32 v[228:229], v[2:3], v[4:5]
	v_add_f64_e32 v[230:231], v[6:7], v[0:1]
	v_mul_f64_e32 v[0:1], s[36:37], v[213:214]
	v_mul_f64_e32 v[4:5], s[10:11], v[207:208]
	s_delay_alu instid0(VALU_DEP_2) | instskip(NEXT) | instid1(VALU_DEP_2)
	v_fma_f64 v[2:3], v[211:212], s[28:29], v[0:1]
	v_fma_f64 v[6:7], v[201:202], s[4:5], v[4:5]
	v_fma_f64 v[0:1], v[211:212], s[28:29], -v[0:1]
	v_fma_f64 v[4:5], v[201:202], s[4:5], -v[4:5]
	s_delay_alu instid0(VALU_DEP_4) | instskip(NEXT) | instid1(VALU_DEP_3)
	v_add_f64_e32 v[2:3], v[138:139], v[2:3]
	v_add_f64_e32 v[0:1], v[138:139], v[0:1]
	s_delay_alu instid0(VALU_DEP_2) | instskip(SKIP_1) | instid1(VALU_DEP_3)
	v_add_f64_e32 v[2:3], v[6:7], v[2:3]
	v_mul_f64_e32 v[6:7], s[36:37], v[215:216]
	v_add_f64_e32 v[0:1], v[4:5], v[0:1]
	s_delay_alu instid0(VALU_DEP_2) | instskip(SKIP_3) | instid1(VALU_DEP_4)
	v_fma_f64 v[12:13], v[209:210], s[28:29], -v[6:7]
	v_fma_f64 v[4:5], v[209:210], s[28:29], v[6:7]
	v_fma_f64 v[6:7], v[203:204], s[4:5], v[14:15]
	v_mul_f64_e32 v[14:15], s[24:25], v[205:206]
	v_add_f64_e32 v[12:13], v[136:137], v[12:13]
	s_delay_alu instid0(VALU_DEP_4) | instskip(NEXT) | instid1(VALU_DEP_2)
	v_add_f64_e32 v[4:5], v[136:137], v[4:5]
	v_add_f64_e32 v[12:13], v[232:233], v[12:13]
	v_fma_f64 v[232:233], v[166:167], s[20:21], v[236:237]
	s_delay_alu instid0(VALU_DEP_3) | instskip(SKIP_1) | instid1(VALU_DEP_3)
	v_add_f64_e32 v[4:5], v[6:7], v[4:5]
	v_fma_f64 v[6:7], v[166:167], s[20:21], -v[236:237]
	v_add_f64_e32 v[2:3], v[232:233], v[2:3]
	v_fma_f64 v[232:233], v[164:165], s[20:21], -v[238:239]
	s_delay_alu instid0(VALU_DEP_3) | instskip(SKIP_1) | instid1(VALU_DEP_3)
	v_add_f64_e32 v[0:1], v[6:7], v[0:1]
	v_fma_f64 v[6:7], v[164:165], s[20:21], v[238:239]
	v_add_f64_e32 v[12:13], v[232:233], v[12:13]
	v_fma_f64 v[232:233], v[172:173], s[26:27], v[243:244]
	s_delay_alu instid0(VALU_DEP_3) | instskip(SKIP_1) | instid1(VALU_DEP_3)
	v_add_f64_e32 v[4:5], v[6:7], v[4:5]
	v_fma_f64 v[6:7], v[172:173], s[26:27], -v[243:244]
	v_add_f64_e32 v[2:3], v[232:233], v[2:3]
	v_fma_f64 v[232:233], v[152:153], s[26:27], -v[245:246]
	s_delay_alu instid0(VALU_DEP_3) | instskip(SKIP_1) | instid1(VALU_DEP_3)
	v_add_f64_e32 v[0:1], v[6:7], v[0:1]
	v_fma_f64 v[6:7], v[152:153], s[26:27], v[245:246]
	v_add_f64_e32 v[12:13], v[232:233], v[12:13]
	v_fma_f64 v[232:233], v[176:177], s[22:23], v[247:248]
	s_delay_alu instid0(VALU_DEP_3) | instskip(SKIP_2) | instid1(VALU_DEP_4)
	v_add_f64_e32 v[4:5], v[6:7], v[4:5]
	v_fma_f64 v[6:7], v[176:177], s[22:23], -v[247:248]
	v_mul_f64_e32 v[247:248], s[42:43], v[178:179]
	v_add_f64_e32 v[2:3], v[232:233], v[2:3]
	v_fma_f64 v[232:233], v[156:157], s[22:23], -v[249:250]
	s_delay_alu instid0(VALU_DEP_4) | instskip(SKIP_2) | instid1(VALU_DEP_4)
	v_add_f64_e32 v[0:1], v[6:7], v[0:1]
	v_fma_f64 v[6:7], v[156:157], s[22:23], v[249:250]
	v_mul_f64_e32 v[249:250], s[42:43], v[158:159]
	v_add_f64_e32 v[12:13], v[232:233], v[12:13]
	v_fma_f64 v[232:233], v[180:181], s[6:7], v[251:252]
	s_delay_alu instid0(VALU_DEP_4) | instskip(SKIP_2) | instid1(VALU_DEP_4)
	v_add_f64_e32 v[4:5], v[6:7], v[4:5]
	v_fma_f64 v[6:7], v[180:181], s[6:7], -v[251:252]
	v_mul_f64_e32 v[251:252], s[40:41], v[182:183]
	v_add_f64_e32 v[2:3], v[232:233], v[2:3]
	v_fma_f64 v[232:233], v[168:169], s[6:7], -v[253:254]
	s_delay_alu instid0(VALU_DEP_4)
	v_add_f64_e32 v[0:1], v[6:7], v[0:1]
	v_fma_f64 v[6:7], v[168:169], s[6:7], v[253:254]
	v_mul_f64_e32 v[253:254], s[40:41], v[170:171]
	v_add_f64_e32 v[2:3], v[18:19], v[2:3]
	v_mul_f64_e32 v[18:19], s[52:53], v[162:163]
	v_add_f64_e32 v[12:13], v[232:233], v[12:13]
	v_add_f64_e32 v[4:5], v[6:7], v[4:5]
	v_fma_f64 v[6:7], v[184:185], s[14:15], -v[16:17]
	v_fma_f64 v[16:17], v[203:204], s[14:15], -v[14:15]
	s_mov_b32 s53, 0x3fc7851a
	s_mov_b32 s52, s10
	v_add_f64_e32 v[234:235], v[22:23], v[2:3]
	v_mul_f64_e32 v[2:3], s[42:43], v[190:191]
	v_fma_f64 v[232:233], v[160:161], s[14:15], -v[18:19]
	v_add_f64_e32 v[0:1], v[6:7], v[0:1]
	v_fma_f64 v[6:7], v[160:161], s[14:15], v[18:19]
	s_delay_alu instid0(VALU_DEP_4) | instskip(SKIP_2) | instid1(VALU_DEP_4)
	v_fma_f64 v[22:23], v[188:189], s[16:17], -v[2:3]
	v_fma_f64 v[2:3], v[188:189], s[16:17], v[2:3]
	v_add_f64_e32 v[12:13], v[232:233], v[12:13]
	v_add_f64_e32 v[4:5], v[6:7], v[4:5]
	v_fma_f64 v[6:7], v[192:193], s[16:17], -v[20:21]
	s_delay_alu instid0(VALU_DEP_3) | instskip(NEXT) | instid1(VALU_DEP_3)
	v_add_f64_e32 v[232:233], v[22:23], v[12:13]
	v_add_f64_e32 v[236:237], v[2:3], v[4:5]
	s_delay_alu instid0(VALU_DEP_3) | instskip(SKIP_2) | instid1(VALU_DEP_2)
	v_add_f64_e32 v[238:239], v[6:7], v[0:1]
	v_mul_f64_e32 v[0:1], s[48:49], v[213:214]
	v_mul_f64_e32 v[4:5], s[24:25], v[207:208]
	v_fma_f64 v[2:3], v[211:212], s[22:23], v[0:1]
	s_delay_alu instid0(VALU_DEP_2) | instskip(SKIP_2) | instid1(VALU_DEP_4)
	v_fma_f64 v[6:7], v[201:202], s[14:15], v[4:5]
	v_fma_f64 v[0:1], v[211:212], s[22:23], -v[0:1]
	v_fma_f64 v[4:5], v[201:202], s[14:15], -v[4:5]
	v_add_f64_e32 v[2:3], v[138:139], v[2:3]
	s_delay_alu instid0(VALU_DEP_3) | instskip(NEXT) | instid1(VALU_DEP_2)
	v_add_f64_e32 v[0:1], v[138:139], v[0:1]
	v_add_f64_e32 v[2:3], v[6:7], v[2:3]
	v_mul_f64_e32 v[6:7], s[48:49], v[215:216]
	s_delay_alu instid0(VALU_DEP_3) | instskip(NEXT) | instid1(VALU_DEP_2)
	v_add_f64_e32 v[0:1], v[4:5], v[0:1]
	v_fma_f64 v[12:13], v[209:210], s[22:23], -v[6:7]
	s_delay_alu instid0(VALU_DEP_1) | instskip(NEXT) | instid1(VALU_DEP_1)
	v_add_f64_e32 v[12:13], v[136:137], v[12:13]
	v_add_f64_e32 v[12:13], v[16:17], v[12:13]
	s_wait_alu 0xfffe
	v_mul_f64_e32 v[16:17], s[52:53], v[198:199]
	s_delay_alu instid0(VALU_DEP_1) | instskip(SKIP_1) | instid1(VALU_DEP_2)
	v_fma_f64 v[18:19], v[166:167], s[4:5], v[16:17]
	v_fma_f64 v[4:5], v[166:167], s[4:5], -v[16:17]
	v_add_f64_e32 v[2:3], v[18:19], v[2:3]
	v_mul_f64_e32 v[18:19], s[52:53], v[196:197]
	s_delay_alu instid0(VALU_DEP_3) | instskip(NEXT) | instid1(VALU_DEP_2)
	v_add_f64_e32 v[0:1], v[4:5], v[0:1]
	v_fma_f64 v[20:21], v[164:165], s[4:5], -v[18:19]
	s_delay_alu instid0(VALU_DEP_1) | instskip(SKIP_1) | instid1(VALU_DEP_1)
	v_add_f64_e32 v[12:13], v[20:21], v[12:13]
	v_mul_f64_e32 v[20:21], s[46:47], v[174:175]
	v_fma_f64 v[4:5], v[172:173], s[20:21], -v[20:21]
	v_fma_f64 v[22:23], v[172:173], s[20:21], v[20:21]
	s_delay_alu instid0(VALU_DEP_2) | instskip(SKIP_1) | instid1(VALU_DEP_3)
	v_add_f64_e32 v[0:1], v[4:5], v[0:1]
	v_fma_f64 v[4:5], v[176:177], s[16:17], -v[247:248]
	v_add_f64_e32 v[2:3], v[22:23], v[2:3]
	v_mul_f64_e32 v[22:23], s[46:47], v[154:155]
	s_delay_alu instid0(VALU_DEP_3) | instskip(SKIP_1) | instid1(VALU_DEP_3)
	v_add_f64_e32 v[0:1], v[4:5], v[0:1]
	v_fma_f64 v[4:5], v[180:181], s[26:27], -v[251:252]
	v_fma_f64 v[243:244], v[152:153], s[20:21], -v[22:23]
	s_delay_alu instid0(VALU_DEP_2) | instskip(SKIP_1) | instid1(VALU_DEP_3)
	v_add_f64_e32 v[0:1], v[4:5], v[0:1]
	v_fma_f64 v[4:5], v[184:185], s[28:29], -v[24:25]
	v_add_f64_e32 v[12:13], v[243:244], v[12:13]
	v_fma_f64 v[243:244], v[176:177], s[16:17], v[247:248]
	v_mul_f64_e32 v[24:25], s[36:37], v[205:206]
	s_delay_alu instid0(VALU_DEP_4) | instskip(SKIP_4) | instid1(VALU_DEP_4)
	v_add_f64_e32 v[0:1], v[4:5], v[0:1]
	v_fma_f64 v[4:5], v[209:210], s[22:23], v[6:7]
	v_fma_f64 v[6:7], v[203:204], s[14:15], v[14:15]
	v_add_f64_e32 v[2:3], v[243:244], v[2:3]
	v_fma_f64 v[243:244], v[156:157], s[16:17], -v[249:250]
	v_add_f64_e32 v[4:5], v[136:137], v[4:5]
	s_delay_alu instid0(VALU_DEP_2) | instskip(SKIP_1) | instid1(VALU_DEP_3)
	v_add_f64_e32 v[12:13], v[243:244], v[12:13]
	v_fma_f64 v[243:244], v[180:181], s[26:27], v[251:252]
	v_add_f64_e32 v[4:5], v[6:7], v[4:5]
	v_fma_f64 v[6:7], v[164:165], s[4:5], v[18:19]
	s_delay_alu instid0(VALU_DEP_3) | instskip(SKIP_1) | instid1(VALU_DEP_3)
	v_add_f64_e32 v[2:3], v[243:244], v[2:3]
	v_fma_f64 v[243:244], v[168:169], s[26:27], -v[253:254]
	v_add_f64_e32 v[4:5], v[6:7], v[4:5]
	v_fma_f64 v[6:7], v[152:153], s[20:21], v[22:23]
	s_delay_alu instid0(VALU_DEP_4) | instskip(SKIP_2) | instid1(VALU_DEP_4)
	v_add_f64_e32 v[2:3], v[26:27], v[2:3]
	v_mul_f64_e32 v[26:27], s[36:37], v[162:163]
	v_add_f64_e32 v[12:13], v[243:244], v[12:13]
	v_add_f64_e32 v[4:5], v[6:7], v[4:5]
	v_fma_f64 v[6:7], v[156:157], s[16:17], v[249:250]
	v_add_f64_e32 v[245:246], v[30:31], v[2:3]
	v_mul_f64_e32 v[2:3], s[18:19], v[190:191]
	v_fma_f64 v[243:244], v[160:161], s[28:29], -v[26:27]
	s_delay_alu instid0(VALU_DEP_4) | instskip(SKIP_1) | instid1(VALU_DEP_4)
	v_add_f64_e32 v[4:5], v[6:7], v[4:5]
	v_fma_f64 v[6:7], v[168:169], s[26:27], v[253:254]
	v_fma_f64 v[30:31], v[188:189], s[6:7], -v[2:3]
	v_fma_f64 v[2:3], v[188:189], s[6:7], v[2:3]
	v_add_f64_e32 v[12:13], v[243:244], v[12:13]
	s_delay_alu instid0(VALU_DEP_4) | instskip(SKIP_2) | instid1(VALU_DEP_4)
	v_add_f64_e32 v[4:5], v[6:7], v[4:5]
	v_fma_f64 v[6:7], v[160:161], s[28:29], v[26:27]
	v_fma_f64 v[26:27], v[203:204], s[28:29], -v[24:25]
	v_add_f64_e32 v[243:244], v[30:31], v[12:13]
	s_delay_alu instid0(VALU_DEP_3) | instskip(SKIP_1) | instid1(VALU_DEP_2)
	v_add_f64_e32 v[4:5], v[6:7], v[4:5]
	v_fma_f64 v[6:7], v[192:193], s[6:7], -v[28:29]
	v_add_f64_e32 v[247:248], v[2:3], v[4:5]
	s_delay_alu instid0(VALU_DEP_2) | instskip(SKIP_2) | instid1(VALU_DEP_2)
	v_add_f64_e32 v[249:250], v[6:7], v[0:1]
	v_mul_f64_e32 v[0:1], s[44:45], v[213:214]
	v_mul_f64_e32 v[4:5], s[36:37], v[207:208]
	v_fma_f64 v[2:3], v[211:212], s[16:17], v[0:1]
	s_delay_alu instid0(VALU_DEP_2) | instskip(SKIP_2) | instid1(VALU_DEP_4)
	v_fma_f64 v[6:7], v[201:202], s[28:29], v[4:5]
	v_fma_f64 v[0:1], v[211:212], s[16:17], -v[0:1]
	v_fma_f64 v[4:5], v[201:202], s[28:29], -v[4:5]
	v_add_f64_e32 v[2:3], v[138:139], v[2:3]
	s_delay_alu instid0(VALU_DEP_3) | instskip(NEXT) | instid1(VALU_DEP_2)
	v_add_f64_e32 v[0:1], v[138:139], v[0:1]
	v_add_f64_e32 v[2:3], v[6:7], v[2:3]
	v_mul_f64_e32 v[6:7], s[24:25], v[198:199]
	s_delay_alu instid0(VALU_DEP_3) | instskip(NEXT) | instid1(VALU_DEP_2)
	v_add_f64_e32 v[0:1], v[4:5], v[0:1]
	v_fma_f64 v[12:13], v[166:167], s[14:15], v[6:7]
	v_fma_f64 v[4:5], v[166:167], s[14:15], -v[6:7]
	v_fma_f64 v[6:7], v[203:204], s[28:29], v[24:25]
	s_delay_alu instid0(VALU_DEP_3) | instskip(SKIP_1) | instid1(VALU_DEP_4)
	v_add_f64_e32 v[2:3], v[12:13], v[2:3]
	v_mul_f64_e32 v[12:13], s[10:11], v[174:175]
	v_add_f64_e32 v[0:1], v[4:5], v[0:1]
	s_delay_alu instid0(VALU_DEP_2) | instskip(SKIP_1) | instid1(VALU_DEP_2)
	v_fma_f64 v[14:15], v[172:173], s[4:5], v[12:13]
	v_fma_f64 v[4:5], v[172:173], s[4:5], -v[12:13]
	v_add_f64_e32 v[2:3], v[14:15], v[2:3]
	v_mul_f64_e32 v[14:15], s[50:51], v[178:179]
	s_delay_alu instid0(VALU_DEP_3) | instskip(NEXT) | instid1(VALU_DEP_2)
	v_add_f64_e32 v[0:1], v[4:5], v[0:1]
	v_fma_f64 v[16:17], v[176:177], s[6:7], v[14:15]
	v_fma_f64 v[4:5], v[176:177], s[6:7], -v[14:15]
	s_delay_alu instid0(VALU_DEP_2) | instskip(SKIP_1) | instid1(VALU_DEP_3)
	v_add_f64_e32 v[2:3], v[16:17], v[2:3]
	v_mul_f64_e32 v[16:17], s[46:47], v[182:183]
	v_add_f64_e32 v[0:1], v[4:5], v[0:1]
	s_delay_alu instid0(VALU_DEP_2) | instskip(SKIP_2) | instid1(VALU_DEP_3)
	v_fma_f64 v[18:19], v[180:181], s[20:21], v[16:17]
	v_fma_f64 v[4:5], v[180:181], s[20:21], -v[16:17]
	v_mul_f64_e32 v[16:17], s[44:45], v[207:208]
	v_add_f64_e32 v[2:3], v[18:19], v[2:3]
	v_mul_f64_e32 v[18:19], s[38:39], v[186:187]
	s_delay_alu instid0(VALU_DEP_4) | instskip(NEXT) | instid1(VALU_DEP_2)
	v_add_f64_e32 v[0:1], v[4:5], v[0:1]
	v_fma_f64 v[20:21], v[184:185], s[22:23], v[18:19]
	v_fma_f64 v[4:5], v[184:185], s[22:23], -v[18:19]
	v_fma_f64 v[18:19], v[201:202], s[16:17], -v[16:17]
	s_delay_alu instid0(VALU_DEP_3) | instskip(SKIP_1) | instid1(VALU_DEP_4)
	v_add_f64_e32 v[2:3], v[20:21], v[2:3]
	v_mul_f64_e32 v[20:21], s[44:45], v[215:216]
	v_add_f64_e32 v[0:1], v[4:5], v[0:1]
	s_delay_alu instid0(VALU_DEP_3) | instskip(NEXT) | instid1(VALU_DEP_3)
	v_add_f64_e32 v[253:254], v[38:39], v[2:3]
	v_fma_f64 v[22:23], v[209:210], s[16:17], -v[20:21]
	v_fma_f64 v[4:5], v[209:210], s[16:17], v[20:21]
	v_mul_f64_e32 v[2:3], s[34:35], v[190:191]
	s_delay_alu instid0(VALU_DEP_3) | instskip(NEXT) | instid1(VALU_DEP_3)
	v_add_f64_e32 v[22:23], v[136:137], v[22:23]
	v_add_f64_e32 v[4:5], v[136:137], v[4:5]
	s_delay_alu instid0(VALU_DEP_3) | instskip(SKIP_1) | instid1(VALU_DEP_4)
	v_fma_f64 v[12:13], v[188:189], s[26:27], v[2:3]
	v_fma_f64 v[38:39], v[188:189], s[26:27], -v[2:3]
	v_add_f64_e32 v[22:23], v[26:27], v[22:23]
	v_mul_f64_e32 v[26:27], s[24:25], v[196:197]
	v_add_f64_e32 v[4:5], v[6:7], v[4:5]
	s_delay_alu instid0(VALU_DEP_2) | instskip(SKIP_1) | instid1(VALU_DEP_2)
	v_fma_f64 v[28:29], v[164:165], s[14:15], -v[26:27]
	v_fma_f64 v[6:7], v[164:165], s[14:15], v[26:27]
	v_add_f64_e32 v[22:23], v[28:29], v[22:23]
	v_mul_f64_e32 v[28:29], s[10:11], v[154:155]
	s_delay_alu instid0(VALU_DEP_3) | instskip(NEXT) | instid1(VALU_DEP_2)
	v_add_f64_e32 v[4:5], v[6:7], v[4:5]
	v_fma_f64 v[30:31], v[152:153], s[4:5], -v[28:29]
	v_fma_f64 v[6:7], v[152:153], s[4:5], v[28:29]
	s_delay_alu instid0(VALU_DEP_2) | instskip(SKIP_1) | instid1(VALU_DEP_3)
	v_add_f64_e32 v[22:23], v[30:31], v[22:23]
	v_mul_f64_e32 v[30:31], s[50:51], v[158:159]
	v_add_f64_e32 v[4:5], v[6:7], v[4:5]
	s_delay_alu instid0(VALU_DEP_2) | instskip(SKIP_1) | instid1(VALU_DEP_2)
	v_fma_f64 v[251:252], v[156:157], s[6:7], -v[30:31]
	v_fma_f64 v[6:7], v[156:157], s[6:7], v[30:31]
	v_add_f64_e32 v[22:23], v[251:252], v[22:23]
	s_delay_alu instid0(VALU_DEP_2) | instskip(SKIP_1) | instid1(VALU_DEP_3)
	v_add_f64_e32 v[4:5], v[6:7], v[4:5]
	v_fma_f64 v[6:7], v[168:169], s[20:21], v[32:33]
	v_add_f64_e32 v[22:23], v[34:35], v[22:23]
	v_mul_f64_e32 v[34:35], s[38:39], v[162:163]
	s_delay_alu instid0(VALU_DEP_3) | instskip(NEXT) | instid1(VALU_DEP_2)
	v_add_f64_e32 v[4:5], v[6:7], v[4:5]
	v_fma_f64 v[6:7], v[160:161], s[22:23], v[34:35]
	v_fma_f64 v[251:252], v[160:161], s[22:23], -v[34:35]
	s_delay_alu instid0(VALU_DEP_2) | instskip(SKIP_1) | instid1(VALU_DEP_3)
	v_add_f64_e32 v[4:5], v[6:7], v[4:5]
	v_fma_f64 v[6:7], v[192:193], s[26:27], -v[36:37]
	v_add_f64_e32 v[22:23], v[251:252], v[22:23]
	s_delay_alu instid0(VALU_DEP_2) | instskip(NEXT) | instid1(VALU_DEP_4)
	v_add_f64_e32 v[2:3], v[6:7], v[0:1]
	v_add_f64_e32 v[0:1], v[12:13], v[4:5]
	v_mul_f64_e32 v[4:5], s[40:41], v[213:214]
	s_delay_alu instid0(VALU_DEP_4) | instskip(SKIP_1) | instid1(VALU_DEP_3)
	v_add_f64_e32 v[251:252], v[38:39], v[22:23]
	v_mul_f64_e32 v[12:13], s[40:41], v[215:216]
	v_fma_f64 v[6:7], v[211:212], s[26:27], v[4:5]
	v_fma_f64 v[4:5], v[211:212], s[26:27], -v[4:5]
	s_delay_alu instid0(VALU_DEP_3) | instskip(SKIP_1) | instid1(VALU_DEP_4)
	v_fma_f64 v[14:15], v[209:210], s[26:27], -v[12:13]
	v_fma_f64 v[12:13], v[209:210], s[26:27], v[12:13]
	v_add_f64_e32 v[6:7], v[138:139], v[6:7]
	s_delay_alu instid0(VALU_DEP_4) | instskip(NEXT) | instid1(VALU_DEP_4)
	v_add_f64_e32 v[4:5], v[138:139], v[4:5]
	v_add_f64_e32 v[14:15], v[136:137], v[14:15]
	s_delay_alu instid0(VALU_DEP_4) | instskip(NEXT) | instid1(VALU_DEP_3)
	v_add_f64_e32 v[12:13], v[136:137], v[12:13]
	v_add_f64_e32 v[4:5], v[18:19], v[4:5]
	v_mul_f64_e32 v[18:19], s[48:49], v[198:199]
	s_delay_alu instid0(VALU_DEP_1) | instskip(NEXT) | instid1(VALU_DEP_1)
	v_fma_f64 v[20:21], v[166:167], s[22:23], -v[18:19]
	v_add_f64_e32 v[4:5], v[20:21], v[4:5]
	v_mul_f64_e32 v[20:21], s[36:37], v[174:175]
	s_delay_alu instid0(VALU_DEP_1) | instskip(NEXT) | instid1(VALU_DEP_1)
	v_fma_f64 v[22:23], v[172:173], s[28:29], -v[20:21]
	;; [unrolled: 4-line block ×5, first 2 shown]
	v_add_f64_e32 v[4:5], v[28:29], v[4:5]
	v_mul_f64_e32 v[28:29], s[44:45], v[205:206]
	s_delay_alu instid0(VALU_DEP_1) | instskip(NEXT) | instid1(VALU_DEP_1)
	v_fma_f64 v[30:31], v[203:204], s[16:17], v[28:29]
	v_add_f64_e32 v[12:13], v[30:31], v[12:13]
	v_mul_f64_e32 v[30:31], s[48:49], v[196:197]
	s_delay_alu instid0(VALU_DEP_1) | instskip(NEXT) | instid1(VALU_DEP_1)
	v_fma_f64 v[32:33], v[164:165], s[22:23], v[30:31]
	v_add_f64_e32 v[12:13], v[32:33], v[12:13]
	v_mul_f64_e32 v[32:33], s[36:37], v[154:155]
	v_mul_f64_e32 v[154:155], s[10:11], v[194:195]
	s_delay_alu instid0(VALU_DEP_2) | instskip(NEXT) | instid1(VALU_DEP_1)
	v_fma_f64 v[34:35], v[152:153], s[28:29], v[32:33]
	v_add_f64_e32 v[12:13], v[34:35], v[12:13]
	v_mul_f64_e32 v[34:35], s[30:31], v[158:159]
	v_mul_f64_e32 v[158:159], s[10:11], v[190:191]
	s_delay_alu instid0(VALU_DEP_2) | instskip(NEXT) | instid1(VALU_DEP_1)
	v_fma_f64 v[36:37], v[156:157], s[20:21], v[34:35]
	v_add_f64_e32 v[12:13], v[36:37], v[12:13]
	v_mul_f64_e32 v[36:37], s[24:25], v[170:171]
	s_delay_alu instid0(VALU_DEP_1) | instskip(NEXT) | instid1(VALU_DEP_1)
	v_fma_f64 v[38:39], v[168:169], s[14:15], v[36:37]
	v_add_f64_e32 v[12:13], v[38:39], v[12:13]
	v_mul_f64_e32 v[38:39], s[18:19], v[162:163]
	s_delay_alu instid0(VALU_DEP_1) | instskip(NEXT) | instid1(VALU_DEP_1)
	v_fma_f64 v[136:137], v[160:161], s[6:7], v[38:39]
	v_add_f64_e32 v[12:13], v[136:137], v[12:13]
	v_fma_f64 v[136:137], v[192:193], s[4:5], -v[154:155]
	s_delay_alu instid0(VALU_DEP_1) | instskip(SKIP_1) | instid1(VALU_DEP_1)
	v_add_f64_e32 v[138:139], v[136:137], v[4:5]
	v_fma_f64 v[4:5], v[188:189], s[4:5], v[158:159]
	v_add_f64_e32 v[136:137], v[4:5], v[12:13]
	v_fma_f64 v[4:5], v[201:202], s[16:17], v[16:17]
	v_fma_f64 v[12:13], v[203:204], s[16:17], -v[28:29]
	v_fma_f64 v[16:17], v[166:167], s[22:23], v[18:19]
	s_delay_alu instid0(VALU_DEP_3) | instskip(SKIP_1) | instid1(VALU_DEP_4)
	v_add_f64_e32 v[4:5], v[4:5], v[6:7]
	v_fma_f64 v[6:7], v[164:165], s[22:23], -v[30:31]
	v_add_f64_e32 v[12:13], v[12:13], v[14:15]
	v_fma_f64 v[14:15], v[172:173], s[28:29], v[20:21]
	s_delay_alu instid0(VALU_DEP_4) | instskip(SKIP_1) | instid1(VALU_DEP_4)
	v_add_f64_e32 v[4:5], v[16:17], v[4:5]
	v_fma_f64 v[16:17], v[152:153], s[28:29], -v[32:33]
	v_add_f64_e32 v[6:7], v[6:7], v[12:13]
	v_fma_f64 v[12:13], v[176:177], s[20:21], v[22:23]
	s_delay_alu instid0(VALU_DEP_4) | instskip(SKIP_1) | instid1(VALU_DEP_4)
	;; [unrolled: 5-line block ×5, first 2 shown]
	v_add_f64_e32 v[4:5], v[14:15], v[4:5]
	v_fma_f64 v[14:15], v[188:189], s[4:5], -v[158:159]
	v_add_f64_e32 v[6:7], v[16:17], v[6:7]
	s_delay_alu instid0(VALU_DEP_3) | instskip(SKIP_1) | instid1(VALU_DEP_3)
	v_add_f64_e32 v[154:155], v[12:13], v[4:5]
	v_mul_lo_u16 v4, v242, 17
	v_add_f64_e32 v[152:153], v[14:15], v[6:7]
	scratch_load_b128 v[12:15], off, off th:TH_LOAD_LU ; 16-byte Folded Reload
	v_and_b32_e32 v4, 0xffff, v4
	s_delay_alu instid0(VALU_DEP_1)
	v_lshlrev_b32_e32 v4, 4, v4
	s_wait_loadcnt 0x0
	ds_store_b128 v4, v[12:15]
	ds_store_b128 v4, v[136:139] offset:16
	ds_store_b128 v4, v[0:3] offset:32
	;; [unrolled: 1-line block ×8, first 2 shown]
	scratch_load_b128 v[0:3], off, off offset:164 th:TH_LOAD_LU ; 16-byte Folded Reload
	s_wait_loadcnt 0x0
	ds_store_b128 v4, v[0:3] offset:144
	ds_store_b128 v4, v[140:143] offset:160
	;; [unrolled: 1-line block ×6, first 2 shown]
	v_mov_b32_e32 v243, v40
	ds_store_b128 v4, v[251:254] offset:240
	ds_store_b128 v4, v[152:155] offset:256
.LBB0_13:
	s_or_b32 exec_lo, exec_lo, s33
	global_wb scope:SCOPE_SE
	s_wait_storecnt_dscnt 0x0
	s_barrier_signal -1
	s_barrier_wait -1
	global_inv scope:SCOPE_SE
	ds_load_b128 v[0:3], v217 offset:13328
	ds_load_b128 v[4:7], v217 offset:15232
	;; [unrolled: 1-line block ×8, first 2 shown]
	s_clause 0x4
	scratch_load_b128 v[166:169], off, off offset:80 th:TH_LOAD_LU
	scratch_load_b128 v[176:179], off, off offset:96 th:TH_LOAD_LU
	;; [unrolled: 1-line block ×5, first 2 shown]
	s_mov_b32 s14, 0x37e14327
	s_mov_b32 s4, 0x36b3c0b5
	;; [unrolled: 1-line block ×16, first 2 shown]
	s_wait_alu 0xfffe
	s_mov_b32 s20, s18
	s_mov_b32 s22, s24
	;; [unrolled: 1-line block ×4, first 2 shown]
	s_wait_loadcnt_dscnt 0x405
	v_mul_f64_e32 v[20:21], v[168:169], v[10:11]
	s_wait_loadcnt_dscnt 0x304
	v_mul_f64_e32 v[24:25], v[178:179], v[138:139]
	v_mul_f64_e32 v[26:27], v[178:179], v[136:137]
	scratch_load_b128 v[178:181], off, off offset:112 th:TH_LOAD_LU ; 16-byte Folded Reload
	s_wait_loadcnt 0x3
	v_mul_f64_e32 v[12:13], v[160:161], v[2:3]
	v_mul_f64_e32 v[14:15], v[160:161], v[0:1]
	s_wait_loadcnt 0x2
	v_mul_f64_e32 v[16:17], v[42:43], v[6:7]
	v_mul_f64_e32 v[18:19], v[42:43], v[4:5]
	;; [unrolled: 1-line block ×3, first 2 shown]
	scratch_load_b128 v[168:171], off, off offset:48 th:TH_LOAD_LU ; 16-byte Folded Reload
	s_wait_loadcnt_dscnt 0x202
	v_mul_f64_e32 v[32:33], v[174:175], v[146:147]
	v_mul_f64_e32 v[34:35], v[174:175], v[144:145]
	v_fma_f64 v[164:165], v[166:167], v[8:9], v[20:21]
	v_fma_f64 v[136:137], v[176:177], v[136:137], v[24:25]
	v_fma_f64 v[138:139], v[176:177], v[138:139], -v[26:27]
	v_fma_f64 v[156:157], v[158:159], v[0:1], v[12:13]
	v_fma_f64 v[158:159], v[158:159], v[2:3], -v[14:15]
	;; [unrolled: 2-line block ×3, first 2 shown]
	v_fma_f64 v[166:167], v[166:167], v[10:11], -v[22:23]
	ds_load_b128 v[0:3], v217
	ds_load_b128 v[4:7], v217 offset:1904
	ds_load_b128 v[8:11], v217 offset:3808
	;; [unrolled: 1-line block ×5, first 2 shown]
	global_wb scope:SCOPE_SE
	s_wait_loadcnt_dscnt 0x0
	s_barrier_signal -1
	s_barrier_wait -1
	global_inv scope:SCOPE_SE
	scratch_load_b32 v40, off, off offset:160 th:TH_LOAD_LU ; 4-byte Folded Reload
	v_fma_f64 v[144:145], v[172:173], v[144:145], v[32:33]
	v_fma_f64 v[146:147], v[172:173], v[146:147], -v[34:35]
	v_add_f64_e64 v[32:33], v[8:9], -v[164:165]
	v_add_f64_e64 v[24:25], v[0:1], -v[156:157]
	;; [unrolled: 1-line block ×4, first 2 shown]
	s_delay_alu instid0(VALU_DEP_4) | instskip(NEXT) | instid1(VALU_DEP_4)
	v_fma_f64 v[8:9], v[8:9], 2.0, -v[32:33]
	v_fma_f64 v[0:1], v[0:1], 2.0, -v[24:25]
	s_delay_alu instid0(VALU_DEP_4) | instskip(NEXT) | instid1(VALU_DEP_4)
	v_fma_f64 v[2:3], v[2:3], 2.0, -v[26:27]
	v_fma_f64 v[10:11], v[10:11], 2.0, -v[34:35]
	v_mul_f64_e32 v[28:29], v[180:181], v[142:143]
	v_mul_f64_e32 v[30:31], v[180:181], v[140:141]
	;; [unrolled: 1-line block ×4, first 2 shown]
	s_delay_alu instid0(VALU_DEP_4) | instskip(NEXT) | instid1(VALU_DEP_4)
	v_fma_f64 v[140:141], v[178:179], v[140:141], v[28:29]
	v_fma_f64 v[142:143], v[178:179], v[142:143], -v[30:31]
	v_add_f64_e64 v[28:29], v[4:5], -v[160:161]
	v_add_f64_e64 v[30:31], v[6:7], -v[162:163]
	v_fma_f64 v[148:149], v[168:169], v[148:149], v[36:37]
	v_fma_f64 v[150:151], v[168:169], v[150:151], -v[38:39]
	v_add_f64_e64 v[36:37], v[12:13], -v[136:137]
	v_add_f64_e64 v[38:39], v[14:15], -v[138:139]
	;; [unrolled: 1-line block ×4, first 2 shown]
	v_fma_f64 v[4:5], v[4:5], 2.0, -v[28:29]
	v_fma_f64 v[6:7], v[6:7], 2.0, -v[30:31]
	v_add_f64_e64 v[140:141], v[20:21], -v[144:145]
	v_add_f64_e64 v[142:143], v[22:23], -v[146:147]
	;; [unrolled: 1-line block ×4, first 2 shown]
	v_fma_f64 v[12:13], v[12:13], 2.0, -v[36:37]
	v_fma_f64 v[14:15], v[14:15], 2.0, -v[38:39]
	s_wait_loadcnt 0x0
	ds_store_b128 v40, v[0:3]
	ds_store_b128 v40, v[24:27] offset:272
	ds_store_b128 v240, v[4:7]
	ds_store_b128 v240, v[28:31] offset:272
	;; [unrolled: 2-line block ×3, first 2 shown]
	scratch_load_b32 v0, off, off offset:156 th:TH_LOAD_LU ; 4-byte Folded Reload
	v_fma_f64 v[16:17], v[16:17], 2.0, -v[136:137]
	v_fma_f64 v[18:19], v[18:19], 2.0, -v[138:139]
	v_fma_f64 v[20:21], v[20:21], 2.0, -v[140:141]
	v_fma_f64 v[22:23], v[22:23], 2.0, -v[142:143]
	v_fma_f64 v[148:149], v[152:153], 2.0, -v[144:145]
	v_fma_f64 v[150:151], v[154:155], 2.0, -v[146:147]
	s_wait_loadcnt 0x0
	ds_store_b128 v0, v[12:15]
	ds_store_b128 v0, v[36:39] offset:272
	scratch_load_b32 v0, off, off offset:152 th:TH_LOAD_LU ; 4-byte Folded Reload
	s_wait_loadcnt 0x0
	ds_store_b128 v0, v[16:19]
	ds_store_b128 v0, v[136:139] offset:272
	scratch_load_b32 v0, off, off offset:148 th:TH_LOAD_LU ; 4-byte Folded Reload
	;; [unrolled: 4-line block ×3, first 2 shown]
	s_wait_loadcnt 0x0
	ds_store_b128 v0, v[148:151]
	ds_store_b128 v0, v[144:147] offset:272
	global_wb scope:SCOPE_SE
	s_wait_dscnt 0x0
	s_barrier_signal -1
	s_barrier_wait -1
	global_inv scope:SCOPE_SE
	ds_load_b128 v[0:3], v217 offset:3808
	ds_load_b128 v[4:7], v217 offset:7616
	ds_load_b128 v[8:11], v217 offset:22848
	ds_load_b128 v[12:15], v217 offset:19040
	ds_load_b128 v[16:19], v217 offset:5712
	ds_load_b128 v[20:23], v217 offset:9520
	ds_load_b128 v[24:27], v217 offset:24752
	ds_load_b128 v[28:31], v217 offset:20944
	scratch_load_b128 v[40:43], off, off offset:128 th:TH_LOAD_LU ; 16-byte Folded Reload
	ds_load_b128 v[32:35], v217 offset:15232
	ds_load_b128 v[36:39], v217 offset:11424
	;; [unrolled: 1-line block ×4, first 2 shown]
	s_wait_dscnt 0xb
	v_mul_f64_e32 v[144:145], v[54:55], v[2:3]
	v_mul_f64_e32 v[54:55], v[54:55], v[0:1]
	s_wait_dscnt 0xa
	v_mul_f64_e32 v[146:147], v[46:47], v[6:7]
	v_mul_f64_e32 v[46:47], v[46:47], v[4:5]
	;; [unrolled: 3-line block ×8, first 2 shown]
	v_mul_f64_e32 v[162:163], v[78:79], v[34:35]
	v_mul_f64_e32 v[78:79], v[78:79], v[32:33]
	v_fma_f64 v[0:1], v[52:53], v[0:1], v[144:145]
	v_fma_f64 v[2:3], v[52:53], v[2:3], -v[54:55]
	v_fma_f64 v[4:5], v[44:45], v[4:5], v[146:147]
	v_fma_f64 v[6:7], v[44:45], v[6:7], -v[46:47]
	;; [unrolled: 2-line block ×3, first 2 shown]
	s_wait_dscnt 0x0
	v_mul_f64_e32 v[44:45], v[66:67], v[142:143]
	v_mul_f64_e32 v[46:47], v[66:67], v[140:141]
	v_fma_f64 v[16:17], v[60:61], v[16:17], v[152:153]
	v_fma_f64 v[18:19], v[60:61], v[18:19], -v[62:63]
	v_fma_f64 v[20:21], v[56:57], v[20:21], v[154:155]
	v_fma_f64 v[22:23], v[56:57], v[22:23], -v[58:59]
	;; [unrolled: 2-line block ×6, first 2 shown]
	v_add_f64_e32 v[48:49], v[0:1], v[8:9]
	v_add_f64_e32 v[50:51], v[2:3], v[10:11]
	v_fma_f64 v[44:45], v[64:65], v[140:141], v[44:45]
	v_fma_f64 v[46:47], v[64:65], v[142:143], -v[46:47]
	v_add_f64_e64 v[8:9], v[0:1], -v[8:9]
	v_add_f64_e64 v[10:11], v[2:3], -v[10:11]
	v_add_f64_e32 v[56:57], v[16:17], v[24:25]
	v_add_f64_e32 v[58:59], v[18:19], v[26:27]
	;; [unrolled: 1-line block ×4, first 2 shown]
	v_add_f64_e64 v[20:21], v[20:21], -v[28:29]
	v_add_f64_e64 v[22:23], v[22:23], -v[30:31]
	v_add_f64_e32 v[64:65], v[36:37], v[32:33]
	v_add_f64_e32 v[66:67], v[38:39], v[34:35]
	v_add_f64_e64 v[32:33], v[32:33], -v[36:37]
	v_add_f64_e64 v[34:35], v[34:35], -v[38:39]
	;; [unrolled: 1-line block ×4, first 2 shown]
	v_add_f64_e32 v[24:25], v[60:61], v[56:57]
	v_add_f64_e32 v[26:27], v[62:63], v[58:59]
	v_add_f64_e64 v[36:37], v[48:49], -v[64:65]
	v_add_f64_e64 v[38:39], v[50:51], -v[66:67]
	;; [unrolled: 1-line block ×4, first 2 shown]
	s_delay_alu instid0(VALU_DEP_4) | instskip(NEXT) | instid1(VALU_DEP_4)
	v_mul_f64_e32 v[36:37], s[14:15], v[36:37]
	v_mul_f64_e32 v[38:39], s[14:15], v[38:39]
	s_delay_alu instid0(VALU_DEP_4) | instskip(NEXT) | instid1(VALU_DEP_4)
	v_mul_f64_e32 v[140:141], s[6:7], v[80:81]
	v_mul_f64_e32 v[142:143], s[6:7], v[82:83]
	s_wait_loadcnt 0x0
	v_mul_f64_e32 v[150:151], v[42:43], v[14:15]
	v_mul_f64_e32 v[42:43], v[42:43], v[12:13]
	s_delay_alu instid0(VALU_DEP_2) | instskip(NEXT) | instid1(VALU_DEP_2)
	v_fma_f64 v[12:13], v[40:41], v[12:13], v[150:151]
	v_fma_f64 v[14:15], v[40:41], v[14:15], -v[42:43]
	v_mul_f64_e32 v[40:41], v[70:71], v[138:139]
	v_mul_f64_e32 v[42:43], v[70:71], v[136:137]
	s_delay_alu instid0(VALU_DEP_4) | instskip(NEXT) | instid1(VALU_DEP_4)
	v_add_f64_e32 v[52:53], v[4:5], v[12:13]
	v_add_f64_e32 v[54:55], v[6:7], v[14:15]
	s_delay_alu instid0(VALU_DEP_4) | instskip(NEXT) | instid1(VALU_DEP_4)
	v_fma_f64 v[40:41], v[68:69], v[136:137], v[40:41]
	v_fma_f64 v[42:43], v[68:69], v[138:139], -v[42:43]
	v_add_f64_e64 v[12:13], v[4:5], -v[12:13]
	v_add_f64_e64 v[14:15], v[6:7], -v[14:15]
	v_add_f64_e32 v[0:1], v[52:53], v[48:49]
	v_add_f64_e32 v[2:3], v[54:55], v[50:51]
	;; [unrolled: 1-line block ×4, first 2 shown]
	v_add_f64_e64 v[28:29], v[44:45], -v[40:41]
	v_add_f64_e64 v[30:31], v[46:47], -v[42:43]
	;; [unrolled: 1-line block ×10, first 2 shown]
	v_add_f64_e32 v[12:13], v[32:33], v[12:13]
	v_add_f64_e32 v[14:15], v[34:35], v[14:15]
	v_add_f64_e64 v[32:33], v[8:9], -v[32:33]
	v_add_f64_e64 v[34:35], v[10:11], -v[34:35]
	v_add_f64_e32 v[64:65], v[64:65], v[0:1]
	v_add_f64_e32 v[66:67], v[66:67], v[2:3]
	v_add_f64_e64 v[72:73], v[56:57], -v[4:5]
	v_add_f64_e64 v[74:75], v[58:59], -v[6:7]
	;; [unrolled: 1-line block ×4, first 2 shown]
	v_add_f64_e32 v[24:25], v[4:5], v[24:25]
	v_add_f64_e32 v[26:27], v[6:7], v[26:27]
	v_add_f64_e64 v[84:85], v[4:5], -v[60:61]
	v_add_f64_e64 v[86:87], v[6:7], -v[62:63]
	ds_load_b128 v[0:3], v217
	ds_load_b128 v[4:7], v217 offset:1904
	v_add_f64_e32 v[20:21], v[28:29], v[20:21]
	v_add_f64_e32 v[22:23], v[30:31], v[22:23]
	v_mul_f64_e32 v[52:53], s[4:5], v[40:41]
	v_mul_f64_e32 v[54:55], s[4:5], v[42:43]
	;; [unrolled: 1-line block ×6, first 2 shown]
	v_add_f64_e64 v[28:29], v[16:17], -v[28:29]
	v_add_f64_e64 v[30:31], v[18:19], -v[30:31]
	;; [unrolled: 1-line block ×4, first 2 shown]
	v_add_f64_e32 v[8:9], v[12:13], v[8:9]
	v_add_f64_e32 v[10:11], v[14:15], v[10:11]
	global_wb scope:SCOPE_SE
	s_wait_dscnt 0x0
	s_barrier_signal -1
	s_barrier_wait -1
	global_inv scope:SCOPE_SE
	v_add_f64_e32 v[0:1], v[0:1], v[64:65]
	v_add_f64_e32 v[2:3], v[2:3], v[66:67]
	v_mul_f64_e32 v[72:73], s[14:15], v[72:73]
	v_mul_f64_e32 v[74:75], s[14:15], v[74:75]
	;; [unrolled: 1-line block ×4, first 2 shown]
	v_add_f64_e32 v[4:5], v[4:5], v[24:25]
	v_add_f64_e32 v[6:7], v[6:7], v[26:27]
	v_mul_f64_e32 v[60:61], s[4:5], v[84:85]
	v_mul_f64_e32 v[62:63], s[4:5], v[86:87]
	v_add_f64_e32 v[12:13], v[20:21], v[16:17]
	v_add_f64_e32 v[14:15], v[22:23], v[18:19]
	v_fma_f64 v[16:17], v[40:41], s[4:5], v[36:37]
	v_fma_f64 v[18:19], v[42:43], s[4:5], v[38:39]
	v_fma_f64 v[20:21], v[48:49], s[18:19], -v[52:53]
	v_fma_f64 v[22:23], v[50:51], s[18:19], -v[54:55]
	v_fma_f64 v[40:41], v[32:33], s[24:25], v[44:45]
	v_fma_f64 v[42:43], v[34:35], s[24:25], v[46:47]
	s_wait_alu 0xfffe
	v_fma_f64 v[32:33], v[32:33], s[22:23], -v[136:137]
	v_fma_f64 v[34:35], v[34:35], s[22:23], -v[138:139]
	v_fma_f64 v[36:37], v[48:49], s[20:21], -v[36:37]
	v_fma_f64 v[38:39], v[50:51], s[20:21], -v[38:39]
	v_fma_f64 v[44:45], v[68:69], s[6:7], -v[44:45]
	v_fma_f64 v[46:47], v[70:71], s[6:7], -v[46:47]
	v_fma_f64 v[52:53], v[64:65], s[10:11], v[0:1]
	v_fma_f64 v[54:55], v[66:67], s[10:11], v[2:3]
	;; [unrolled: 1-line block ×8, first 2 shown]
	v_fma_f64 v[68:69], v[80:81], s[6:7], -v[76:77]
	v_fma_f64 v[70:71], v[82:83], s[6:7], -v[78:79]
	;; [unrolled: 1-line block ×8, first 2 shown]
	v_fma_f64 v[40:41], v[8:9], s[26:27], v[40:41]
	v_fma_f64 v[42:43], v[10:11], s[26:27], v[42:43]
	;; [unrolled: 1-line block ×6, first 2 shown]
	v_add_f64_e32 v[60:61], v[16:17], v[52:53]
	v_add_f64_e32 v[62:63], v[18:19], v[54:55]
	;; [unrolled: 1-line block ×6, first 2 shown]
	v_fma_f64 v[54:55], v[12:13], s[26:27], v[64:65]
	v_fma_f64 v[52:53], v[14:15], s[26:27], v[66:67]
	v_add_f64_e32 v[76:77], v[48:49], v[24:25]
	v_add_f64_e32 v[78:79], v[50:51], v[26:27]
	v_fma_f64 v[64:65], v[12:13], s[26:27], v[68:69]
	v_fma_f64 v[66:67], v[14:15], s[26:27], v[70:71]
	;; [unrolled: 1-line block ×4, first 2 shown]
	v_add_f64_e32 v[48:49], v[72:73], v[24:25]
	v_add_f64_e32 v[50:51], v[74:75], v[26:27]
	;; [unrolled: 1-line block ×5, first 2 shown]
	v_add_f64_e64 v[10:11], v[62:63], -v[40:41]
	v_add_f64_e32 v[12:13], v[34:35], v[36:37]
	v_add_f64_e64 v[14:15], v[38:39], -v[32:33]
	v_add_f64_e64 v[16:17], v[20:21], -v[46:47]
	v_add_f64_e32 v[18:19], v[44:45], v[22:23]
	v_add_f64_e32 v[20:21], v[46:47], v[20:21]
	v_add_f64_e64 v[22:23], v[22:23], -v[44:45]
	v_add_f64_e64 v[24:25], v[36:37], -v[34:35]
	v_add_f64_e32 v[26:27], v[32:33], v[38:39]
	v_add_f64_e64 v[28:29], v[60:61], -v[42:43]
	v_add_f64_e32 v[30:31], v[40:41], v[62:63]
	v_add_f64_e32 v[32:33], v[52:53], v[76:77]
	v_add_f64_e64 v[34:35], v[78:79], -v[54:55]
	v_add_f64_e32 v[36:37], v[70:71], v[48:49]
	v_add_f64_e64 v[38:39], v[50:51], -v[68:69]
	v_add_f64_e64 v[40:41], v[56:57], -v[66:67]
	v_add_f64_e32 v[42:43], v[64:65], v[58:59]
	v_add_f64_e32 v[44:45], v[66:67], v[56:57]
	v_add_f64_e64 v[46:47], v[58:59], -v[64:65]
	v_add_f64_e64 v[48:49], v[48:49], -v[70:71]
	v_add_f64_e32 v[50:51], v[68:69], v[50:51]
	v_add_f64_e64 v[52:53], v[76:77], -v[52:53]
	v_add_f64_e32 v[54:55], v[54:55], v[78:79]
	ds_store_b128 v227, v[0:3]
	ds_store_b128 v227, v[8:11] offset:544
	ds_store_b128 v227, v[12:15] offset:1088
	;; [unrolled: 1-line block ×6, first 2 shown]
	ds_store_b128 v200, v[4:7]
	ds_store_b128 v200, v[32:35] offset:544
	ds_store_b128 v200, v[36:39] offset:1088
	;; [unrolled: 1-line block ×6, first 2 shown]
	global_wb scope:SCOPE_SE
	s_wait_dscnt 0x0
	s_barrier_signal -1
	s_barrier_wait -1
	global_inv scope:SCOPE_SE
	ds_load_b128 v[0:3], v217 offset:3808
	ds_load_b128 v[4:7], v217 offset:7616
	;; [unrolled: 1-line block ×12, first 2 shown]
	s_wait_dscnt 0xb
	v_mul_f64_e32 v[48:49], v[94:95], v[2:3]
	v_mul_f64_e32 v[50:51], v[94:95], v[0:1]
	s_wait_dscnt 0xa
	v_mul_f64_e32 v[52:53], v[90:91], v[6:7]
	v_mul_f64_e32 v[54:55], v[90:91], v[4:5]
	;; [unrolled: 3-line block ×9, first 2 shown]
	v_mul_f64_e32 v[84:85], v[126:127], v[34:35]
	v_mul_f64_e32 v[86:87], v[126:127], v[32:33]
	v_fma_f64 v[0:1], v[92:93], v[0:1], v[48:49]
	v_fma_f64 v[2:3], v[92:93], v[2:3], -v[50:51]
	v_fma_f64 v[4:5], v[88:89], v[4:5], v[52:53]
	v_fma_f64 v[6:7], v[88:89], v[6:7], -v[54:55]
	;; [unrolled: 2-line block ×4, first 2 shown]
	s_wait_dscnt 0x1
	v_mul_f64_e32 v[48:49], v[118:119], v[42:43]
	v_mul_f64_e32 v[50:51], v[118:119], v[40:41]
	s_wait_dscnt 0x0
	v_mul_f64_e32 v[52:53], v[114:115], v[46:47]
	v_mul_f64_e32 v[54:55], v[114:115], v[44:45]
	v_fma_f64 v[16:17], v[108:109], v[16:17], v[64:65]
	v_fma_f64 v[18:19], v[108:109], v[18:19], -v[66:67]
	v_fma_f64 v[20:21], v[104:105], v[20:21], v[68:69]
	v_fma_f64 v[22:23], v[104:105], v[22:23], -v[70:71]
	;; [unrolled: 2-line block ×6, first 2 shown]
	v_add_f64_e32 v[56:57], v[0:1], v[8:9]
	v_add_f64_e32 v[58:59], v[2:3], v[10:11]
	;; [unrolled: 1-line block ×4, first 2 shown]
	v_fma_f64 v[40:41], v[116:117], v[40:41], v[48:49]
	v_fma_f64 v[42:43], v[116:117], v[42:43], -v[50:51]
	v_fma_f64 v[44:45], v[112:113], v[44:45], v[52:53]
	v_fma_f64 v[46:47], v[112:113], v[46:47], -v[54:55]
	v_add_f64_e64 v[12:13], v[4:5], -v[12:13]
	v_add_f64_e64 v[14:15], v[6:7], -v[14:15]
	;; [unrolled: 1-line block ×4, first 2 shown]
	v_add_f64_e32 v[48:49], v[16:17], v[24:25]
	v_add_f64_e32 v[50:51], v[18:19], v[26:27]
	;; [unrolled: 1-line block ×4, first 2 shown]
	v_add_f64_e64 v[20:21], v[20:21], -v[28:29]
	v_add_f64_e64 v[22:23], v[22:23], -v[30:31]
	v_add_f64_e32 v[64:65], v[36:37], v[32:33]
	v_add_f64_e32 v[66:67], v[38:39], v[34:35]
	v_add_f64_e64 v[32:33], v[32:33], -v[36:37]
	v_add_f64_e64 v[34:35], v[34:35], -v[38:39]
	;; [unrolled: 1-line block ×4, first 2 shown]
	v_add_f64_e32 v[0:1], v[60:61], v[56:57]
	v_add_f64_e32 v[2:3], v[62:63], v[58:59]
	;; [unrolled: 1-line block ×4, first 2 shown]
	v_add_f64_e64 v[28:29], v[44:45], -v[40:41]
	v_add_f64_e64 v[30:31], v[46:47], -v[42:43]
	;; [unrolled: 1-line block ×4, first 2 shown]
	v_add_f64_e32 v[24:25], v[52:53], v[48:49]
	v_add_f64_e32 v[26:27], v[54:55], v[50:51]
	v_add_f64_e64 v[36:37], v[56:57], -v[64:65]
	v_add_f64_e64 v[38:39], v[58:59], -v[66:67]
	;; [unrolled: 1-line block ×10, first 2 shown]
	v_add_f64_e32 v[12:13], v[32:33], v[12:13]
	v_add_f64_e32 v[14:15], v[34:35], v[14:15]
	v_add_f64_e64 v[32:33], v[8:9], -v[32:33]
	v_add_f64_e64 v[34:35], v[10:11], -v[34:35]
	v_add_f64_e32 v[64:65], v[64:65], v[0:1]
	v_add_f64_e32 v[66:67], v[66:67], v[2:3]
	v_add_f64_e64 v[72:73], v[48:49], -v[4:5]
	v_add_f64_e64 v[74:75], v[50:51], -v[6:7]
	;; [unrolled: 1-line block ×6, first 2 shown]
	v_add_f64_e32 v[20:21], v[28:29], v[20:21]
	v_add_f64_e32 v[22:23], v[30:31], v[22:23]
	;; [unrolled: 1-line block ×4, first 2 shown]
	ds_load_b128 v[0:3], v217
	ds_load_b128 v[4:7], v217 offset:1904
	v_mul_f64_e32 v[88:89], s[6:7], v[68:69]
	v_mul_f64_e32 v[36:37], s[14:15], v[36:37]
	v_mul_f64_e32 v[38:39], s[14:15], v[38:39]
	v_mul_f64_e32 v[60:61], s[4:5], v[40:41]
	v_mul_f64_e32 v[62:63], s[4:5], v[42:43]
	v_mul_f64_e32 v[44:45], s[16:17], v[44:45]
	v_mul_f64_e32 v[46:47], s[16:17], v[46:47]
	v_mul_f64_e32 v[90:91], s[6:7], v[70:71]
	v_add_f64_e64 v[28:29], v[16:17], -v[28:29]
	v_add_f64_e64 v[30:31], v[18:19], -v[30:31]
	v_mul_f64_e32 v[92:93], s[6:7], v[80:81]
	v_mul_f64_e32 v[94:95], s[6:7], v[82:83]
	v_add_f64_e64 v[48:49], v[52:53], -v[48:49]
	v_add_f64_e64 v[50:51], v[54:55], -v[50:51]
	v_add_f64_e32 v[8:9], v[12:13], v[8:9]
	v_add_f64_e32 v[10:11], v[14:15], v[10:11]
	s_wait_dscnt 0x1
	v_add_f64_e32 v[0:1], v[0:1], v[64:65]
	v_add_f64_e32 v[2:3], v[2:3], v[66:67]
	v_mul_f64_e32 v[72:73], s[14:15], v[72:73]
	v_mul_f64_e32 v[74:75], s[14:15], v[74:75]
	;; [unrolled: 1-line block ×6, first 2 shown]
	v_add_f64_e32 v[12:13], v[20:21], v[16:17]
	v_add_f64_e32 v[14:15], v[22:23], v[18:19]
	s_wait_dscnt 0x0
	v_add_f64_e32 v[4:5], v[4:5], v[24:25]
	v_add_f64_e32 v[6:7], v[6:7], v[26:27]
	v_fma_f64 v[16:17], v[40:41], s[4:5], v[36:37]
	v_fma_f64 v[18:19], v[42:43], s[4:5], v[38:39]
	v_fma_f64 v[20:21], v[56:57], s[18:19], -v[60:61]
	v_fma_f64 v[22:23], v[58:59], s[18:19], -v[62:63]
	v_fma_f64 v[40:41], v[32:33], s[24:25], v[44:45]
	v_fma_f64 v[42:43], v[34:35], s[24:25], v[46:47]
	v_fma_f64 v[32:33], v[32:33], s[22:23], -v[88:89]
	v_fma_f64 v[34:35], v[34:35], s[22:23], -v[90:91]
	;; [unrolled: 1-line block ×6, first 2 shown]
	v_fma_f64 v[60:61], v[64:65], s[10:11], v[0:1]
	v_fma_f64 v[62:63], v[66:67], s[10:11], v[2:3]
	;; [unrolled: 1-line block ×6, first 2 shown]
	v_fma_f64 v[68:69], v[80:81], s[6:7], -v[76:77]
	v_fma_f64 v[70:71], v[82:83], s[6:7], -v[78:79]
	;; [unrolled: 1-line block ×4, first 2 shown]
	v_fma_f64 v[24:25], v[24:25], s[10:11], v[4:5]
	v_fma_f64 v[26:27], v[26:27], s[10:11], v[6:7]
	v_fma_f64 v[72:73], v[48:49], s[20:21], -v[72:73]
	v_fma_f64 v[74:75], v[50:51], s[20:21], -v[74:75]
	;; [unrolled: 1-line block ×4, first 2 shown]
	v_fma_f64 v[40:41], v[8:9], s[26:27], v[40:41]
	v_fma_f64 v[42:43], v[10:11], s[26:27], v[42:43]
	;; [unrolled: 1-line block ×6, first 2 shown]
	v_add_f64_e32 v[52:53], v[16:17], v[60:61]
	v_add_f64_e32 v[54:55], v[18:19], v[62:63]
	;; [unrolled: 1-line block ×6, first 2 shown]
	v_fma_f64 v[60:61], v[12:13], s[26:27], v[64:65]
	v_fma_f64 v[62:63], v[14:15], s[26:27], v[66:67]
	;; [unrolled: 1-line block ×6, first 2 shown]
	v_add_f64_e32 v[56:57], v[56:57], v[24:25]
	v_add_f64_e32 v[58:59], v[58:59], v[26:27]
	;; [unrolled: 1-line block ×7, first 2 shown]
	v_add_f64_e64 v[10:11], v[54:55], -v[40:41]
	v_add_f64_e32 v[12:13], v[34:35], v[36:37]
	v_add_f64_e64 v[14:15], v[38:39], -v[32:33]
	v_add_f64_e64 v[24:25], v[36:37], -v[34:35]
	v_add_f64_e32 v[26:27], v[32:33], v[38:39]
	v_add_f64_e64 v[16:17], v[20:21], -v[46:47]
	v_add_f64_e32 v[18:19], v[44:45], v[22:23]
	;; [unrolled: 2-line block ×3, first 2 shown]
	v_add_f64_e32 v[20:21], v[46:47], v[20:21]
	v_add_f64_e64 v[22:23], v[22:23], -v[44:45]
	v_add_f64_e32 v[32:33], v[62:63], v[56:57]
	v_add_f64_e64 v[34:35], v[58:59], -v[60:61]
	;; [unrolled: 2-line block ×3, first 2 shown]
	v_add_f64_e64 v[40:41], v[48:49], -v[66:67]
	v_add_f64_e32 v[42:43], v[64:65], v[50:51]
	v_add_f64_e32 v[44:45], v[66:67], v[48:49]
	v_add_f64_e64 v[46:47], v[50:51], -v[64:65]
	v_add_f64_e64 v[48:49], v[72:73], -v[70:71]
	v_add_f64_e32 v[50:51], v[68:69], v[74:75]
	v_add_f64_e64 v[52:53], v[56:57], -v[62:63]
	v_add_f64_e32 v[54:55], v[60:61], v[58:59]
	ds_store_b128 v217, v[0:3]
	ds_store_b128 v217, v[4:7] offset:1904
	ds_store_b128 v217, v[8:11] offset:3808
	;; [unrolled: 1-line block ×13, first 2 shown]
	global_wb scope:SCOPE_SE
	s_wait_dscnt 0x0
	s_barrier_signal -1
	s_barrier_wait -1
	global_inv scope:SCOPE_SE
	s_and_b32 exec_lo, exec_lo, vcc_lo
	s_cbranch_execz .LBB0_15
; %bb.14:
	global_load_b128 v[0:3], v241, s[8:9]
	ds_load_b128 v[4:7], v217
	ds_load_b128 v[8:11], v218 offset:1568
	s_mov_b32 s4, 0xca869b81
	s_mov_b32 s5, 0x3f43ab2d
	s_wait_loadcnt_dscnt 0x1
	v_mul_f64_e32 v[12:13], v[6:7], v[2:3]
	v_mul_f64_e32 v[2:3], v[4:5], v[2:3]
	s_delay_alu instid0(VALU_DEP_2) | instskip(NEXT) | instid1(VALU_DEP_2)
	v_fma_f64 v[4:5], v[4:5], v[0:1], v[12:13]
	v_fma_f64 v[2:3], v[0:1], v[6:7], -v[2:3]
	v_mad_co_u64_u32 v[6:7], null, s2, v243, 0
	v_mad_co_u64_u32 v[12:13], null, s0, v242, 0
	s_wait_alu 0xfffe
	s_delay_alu instid0(VALU_DEP_4) | instskip(NEXT) | instid1(VALU_DEP_4)
	v_mul_f64_e32 v[0:1], s[4:5], v[4:5]
	v_mul_f64_e32 v[2:3], s[4:5], v[2:3]
	s_delay_alu instid0(VALU_DEP_3) | instskip(NEXT) | instid1(VALU_DEP_1)
	v_dual_mov_b32 v4, v7 :: v_dual_mov_b32 v5, v13
	v_mad_co_u64_u32 v[13:14], null, s3, v243, v[4:5]
	v_mad_co_u64_u32 v[4:5], null, s1, v242, v[5:6]
	s_mul_u64 s[0:1], s[0:1], 0x620
	s_delay_alu instid0(VALU_DEP_2) | instskip(NEXT) | instid1(VALU_DEP_2)
	v_mov_b32_e32 v7, v13
	v_mov_b32_e32 v13, v4
	s_delay_alu instid0(VALU_DEP_2) | instskip(NEXT) | instid1(VALU_DEP_2)
	v_lshlrev_b64_e32 v[4:5], 4, v[6:7]
	v_lshlrev_b64_e32 v[6:7], 4, v[12:13]
	s_delay_alu instid0(VALU_DEP_2) | instskip(NEXT) | instid1(VALU_DEP_3)
	v_add_co_u32 v4, vcc_lo, s12, v4
	v_add_co_ci_u32_e32 v5, vcc_lo, s13, v5, vcc_lo
	s_delay_alu instid0(VALU_DEP_2) | instskip(SKIP_1) | instid1(VALU_DEP_2)
	v_add_co_u32 v4, vcc_lo, v4, v6
	s_wait_alu 0xfffd
	v_add_co_ci_u32_e32 v5, vcc_lo, v5, v7, vcc_lo
	s_wait_alu 0xfffe
	s_delay_alu instid0(VALU_DEP_2)
	v_add_co_u32 v12, vcc_lo, v4, s0
	global_store_b128 v[4:5], v[0:3], off
	global_load_b128 v[0:3], v241, s[8:9] offset:1568
	s_wait_alu 0xfffd
	v_add_co_ci_u32_e32 v13, vcc_lo, s1, v5, vcc_lo
	s_wait_loadcnt_dscnt 0x0
	v_mul_f64_e32 v[6:7], v[10:11], v[2:3]
	v_mul_f64_e32 v[2:3], v[8:9], v[2:3]
	s_delay_alu instid0(VALU_DEP_2) | instskip(NEXT) | instid1(VALU_DEP_2)
	v_fma_f64 v[6:7], v[8:9], v[0:1], v[6:7]
	v_fma_f64 v[2:3], v[0:1], v[10:11], -v[2:3]
	s_delay_alu instid0(VALU_DEP_2) | instskip(NEXT) | instid1(VALU_DEP_2)
	v_mul_f64_e32 v[0:1], s[4:5], v[6:7]
	v_mul_f64_e32 v[2:3], s[4:5], v[2:3]
	global_store_b128 v[12:13], v[0:3], off
	global_load_b128 v[0:3], v241, s[8:9] offset:3136
	ds_load_b128 v[4:7], v218 offset:3136
	ds_load_b128 v[8:11], v218 offset:4704
	s_wait_loadcnt_dscnt 0x1
	v_mul_f64_e32 v[14:15], v[6:7], v[2:3]
	v_mul_f64_e32 v[2:3], v[4:5], v[2:3]
	s_delay_alu instid0(VALU_DEP_2) | instskip(NEXT) | instid1(VALU_DEP_2)
	v_fma_f64 v[4:5], v[4:5], v[0:1], v[14:15]
	v_fma_f64 v[2:3], v[0:1], v[6:7], -v[2:3]
	s_delay_alu instid0(VALU_DEP_2) | instskip(NEXT) | instid1(VALU_DEP_2)
	v_mul_f64_e32 v[0:1], s[4:5], v[4:5]
	v_mul_f64_e32 v[2:3], s[4:5], v[2:3]
	v_add_co_u32 v4, vcc_lo, v12, s0
	s_wait_alu 0xfffd
	v_add_co_ci_u32_e32 v5, vcc_lo, s1, v13, vcc_lo
	s_delay_alu instid0(VALU_DEP_2) | instskip(SKIP_1) | instid1(VALU_DEP_2)
	v_add_co_u32 v12, vcc_lo, v4, s0
	s_wait_alu 0xfffd
	v_add_co_ci_u32_e32 v13, vcc_lo, s1, v5, vcc_lo
	global_store_b128 v[4:5], v[0:3], off
	global_load_b128 v[0:3], v241, s[8:9] offset:4704
	s_wait_loadcnt_dscnt 0x0
	v_mul_f64_e32 v[6:7], v[10:11], v[2:3]
	v_mul_f64_e32 v[2:3], v[8:9], v[2:3]
	s_delay_alu instid0(VALU_DEP_2) | instskip(NEXT) | instid1(VALU_DEP_2)
	v_fma_f64 v[6:7], v[8:9], v[0:1], v[6:7]
	v_fma_f64 v[2:3], v[0:1], v[10:11], -v[2:3]
	s_delay_alu instid0(VALU_DEP_2) | instskip(NEXT) | instid1(VALU_DEP_2)
	v_mul_f64_e32 v[0:1], s[4:5], v[6:7]
	v_mul_f64_e32 v[2:3], s[4:5], v[2:3]
	global_store_b128 v[12:13], v[0:3], off
	global_load_b128 v[0:3], v241, s[8:9] offset:6272
	ds_load_b128 v[4:7], v218 offset:6272
	ds_load_b128 v[8:11], v218 offset:7840
	s_wait_loadcnt_dscnt 0x1
	v_mul_f64_e32 v[14:15], v[6:7], v[2:3]
	v_mul_f64_e32 v[2:3], v[4:5], v[2:3]
	s_delay_alu instid0(VALU_DEP_2) | instskip(NEXT) | instid1(VALU_DEP_2)
	v_fma_f64 v[4:5], v[4:5], v[0:1], v[14:15]
	v_fma_f64 v[2:3], v[0:1], v[6:7], -v[2:3]
	s_delay_alu instid0(VALU_DEP_2) | instskip(NEXT) | instid1(VALU_DEP_2)
	v_mul_f64_e32 v[0:1], s[4:5], v[4:5]
	v_mul_f64_e32 v[2:3], s[4:5], v[2:3]
	v_add_co_u32 v4, vcc_lo, v12, s0
	s_wait_alu 0xfffd
	v_add_co_ci_u32_e32 v5, vcc_lo, s1, v13, vcc_lo
	s_delay_alu instid0(VALU_DEP_2) | instskip(SKIP_1) | instid1(VALU_DEP_2)
	v_add_co_u32 v12, vcc_lo, v4, s0
	s_wait_alu 0xfffd
	v_add_co_ci_u32_e32 v13, vcc_lo, s1, v5, vcc_lo
	global_store_b128 v[4:5], v[0:3], off
	global_load_b128 v[0:3], v241, s[8:9] offset:7840
	;; [unrolled: 31-line block ×6, first 2 shown]
	s_wait_loadcnt_dscnt 0x0
	v_mul_f64_e32 v[6:7], v[10:11], v[2:3]
	v_mul_f64_e32 v[2:3], v[8:9], v[2:3]
	s_delay_alu instid0(VALU_DEP_2) | instskip(NEXT) | instid1(VALU_DEP_2)
	v_fma_f64 v[6:7], v[8:9], v[0:1], v[6:7]
	v_fma_f64 v[2:3], v[0:1], v[10:11], -v[2:3]
	s_delay_alu instid0(VALU_DEP_2) | instskip(NEXT) | instid1(VALU_DEP_2)
	v_mul_f64_e32 v[0:1], s[4:5], v[6:7]
	v_mul_f64_e32 v[2:3], s[4:5], v[2:3]
	global_store_b128 v[12:13], v[0:3], off
	global_load_b128 v[0:3], v241, s[8:9] offset:21952
	ds_load_b128 v[4:7], v218 offset:21952
	ds_load_b128 v[8:11], v218 offset:23520
	s_wait_loadcnt_dscnt 0x1
	v_mul_f64_e32 v[14:15], v[6:7], v[2:3]
	v_mul_f64_e32 v[2:3], v[4:5], v[2:3]
	s_delay_alu instid0(VALU_DEP_2) | instskip(NEXT) | instid1(VALU_DEP_2)
	v_fma_f64 v[4:5], v[4:5], v[0:1], v[14:15]
	v_fma_f64 v[2:3], v[0:1], v[6:7], -v[2:3]
	s_delay_alu instid0(VALU_DEP_2) | instskip(NEXT) | instid1(VALU_DEP_2)
	v_mul_f64_e32 v[0:1], s[4:5], v[4:5]
	v_mul_f64_e32 v[2:3], s[4:5], v[2:3]
	v_add_co_u32 v4, vcc_lo, v12, s0
	s_wait_alu 0xfffd
	v_add_co_ci_u32_e32 v5, vcc_lo, s1, v13, vcc_lo
	global_store_b128 v[4:5], v[0:3], off
	global_load_b128 v[0:3], v241, s[8:9] offset:23520
	s_wait_loadcnt_dscnt 0x0
	v_mul_f64_e32 v[6:7], v[10:11], v[2:3]
	v_mul_f64_e32 v[2:3], v[8:9], v[2:3]
	s_delay_alu instid0(VALU_DEP_2) | instskip(NEXT) | instid1(VALU_DEP_2)
	v_fma_f64 v[6:7], v[8:9], v[0:1], v[6:7]
	v_fma_f64 v[2:3], v[0:1], v[10:11], -v[2:3]
	v_add_co_u32 v8, vcc_lo, v4, s0
	s_wait_alu 0xfffd
	v_add_co_ci_u32_e32 v9, vcc_lo, s1, v5, vcc_lo
	s_delay_alu instid0(VALU_DEP_4) | instskip(NEXT) | instid1(VALU_DEP_4)
	v_mul_f64_e32 v[0:1], s[4:5], v[6:7]
	v_mul_f64_e32 v[2:3], s[4:5], v[2:3]
	ds_load_b128 v[4:7], v218 offset:25088
	global_store_b128 v[8:9], v[0:3], off
	global_load_b128 v[0:3], v241, s[8:9] offset:25088
	s_wait_loadcnt_dscnt 0x0
	v_mul_f64_e32 v[10:11], v[6:7], v[2:3]
	v_mul_f64_e32 v[2:3], v[4:5], v[2:3]
	s_delay_alu instid0(VALU_DEP_2) | instskip(NEXT) | instid1(VALU_DEP_2)
	v_fma_f64 v[4:5], v[4:5], v[0:1], v[10:11]
	v_fma_f64 v[2:3], v[0:1], v[6:7], -v[2:3]
	s_delay_alu instid0(VALU_DEP_2) | instskip(NEXT) | instid1(VALU_DEP_2)
	v_mul_f64_e32 v[0:1], s[4:5], v[4:5]
	v_mul_f64_e32 v[2:3], s[4:5], v[2:3]
	v_add_co_u32 v4, vcc_lo, v8, s0
	s_wait_alu 0xfffd
	v_add_co_ci_u32_e32 v5, vcc_lo, s1, v9, vcc_lo
	global_store_b128 v[4:5], v[0:3], off
.LBB0_15:
	s_nop 0
	s_sendmsg sendmsg(MSG_DEALLOC_VGPRS)
	s_endpgm
	.section	.rodata,"a",@progbits
	.p2align	6, 0x0
	.amdhsa_kernel bluestein_single_back_len1666_dim1_dp_op_CI_CI
		.amdhsa_group_segment_fixed_size 26656
		.amdhsa_private_segment_fixed_size 184
		.amdhsa_kernarg_size 104
		.amdhsa_user_sgpr_count 2
		.amdhsa_user_sgpr_dispatch_ptr 0
		.amdhsa_user_sgpr_queue_ptr 0
		.amdhsa_user_sgpr_kernarg_segment_ptr 1
		.amdhsa_user_sgpr_dispatch_id 0
		.amdhsa_user_sgpr_private_segment_size 0
		.amdhsa_wavefront_size32 1
		.amdhsa_uses_dynamic_stack 0
		.amdhsa_enable_private_segment 1
		.amdhsa_system_sgpr_workgroup_id_x 1
		.amdhsa_system_sgpr_workgroup_id_y 0
		.amdhsa_system_sgpr_workgroup_id_z 0
		.amdhsa_system_sgpr_workgroup_info 0
		.amdhsa_system_vgpr_workitem_id 0
		.amdhsa_next_free_vgpr 256
		.amdhsa_next_free_sgpr 58
		.amdhsa_reserve_vcc 1
		.amdhsa_float_round_mode_32 0
		.amdhsa_float_round_mode_16_64 0
		.amdhsa_float_denorm_mode_32 3
		.amdhsa_float_denorm_mode_16_64 3
		.amdhsa_fp16_overflow 0
		.amdhsa_workgroup_processor_mode 1
		.amdhsa_memory_ordered 1
		.amdhsa_forward_progress 0
		.amdhsa_round_robin_scheduling 0
		.amdhsa_exception_fp_ieee_invalid_op 0
		.amdhsa_exception_fp_denorm_src 0
		.amdhsa_exception_fp_ieee_div_zero 0
		.amdhsa_exception_fp_ieee_overflow 0
		.amdhsa_exception_fp_ieee_underflow 0
		.amdhsa_exception_fp_ieee_inexact 0
		.amdhsa_exception_int_div_zero 0
	.end_amdhsa_kernel
	.text
.Lfunc_end0:
	.size	bluestein_single_back_len1666_dim1_dp_op_CI_CI, .Lfunc_end0-bluestein_single_back_len1666_dim1_dp_op_CI_CI
                                        ; -- End function
	.section	.AMDGPU.csdata,"",@progbits
; Kernel info:
; codeLenInByte = 24848
; NumSgprs: 60
; NumVgprs: 256
; ScratchSize: 184
; MemoryBound: 0
; FloatMode: 240
; IeeeMode: 1
; LDSByteSize: 26656 bytes/workgroup (compile time only)
; SGPRBlocks: 7
; VGPRBlocks: 31
; NumSGPRsForWavesPerEU: 60
; NumVGPRsForWavesPerEU: 256
; Occupancy: 4
; WaveLimiterHint : 1
; COMPUTE_PGM_RSRC2:SCRATCH_EN: 1
; COMPUTE_PGM_RSRC2:USER_SGPR: 2
; COMPUTE_PGM_RSRC2:TRAP_HANDLER: 0
; COMPUTE_PGM_RSRC2:TGID_X_EN: 1
; COMPUTE_PGM_RSRC2:TGID_Y_EN: 0
; COMPUTE_PGM_RSRC2:TGID_Z_EN: 0
; COMPUTE_PGM_RSRC2:TIDIG_COMP_CNT: 0
	.text
	.p2alignl 7, 3214868480
	.fill 96, 4, 3214868480
	.type	__hip_cuid_5805a705829035d8,@object ; @__hip_cuid_5805a705829035d8
	.section	.bss,"aw",@nobits
	.globl	__hip_cuid_5805a705829035d8
__hip_cuid_5805a705829035d8:
	.byte	0                               ; 0x0
	.size	__hip_cuid_5805a705829035d8, 1

	.ident	"AMD clang version 19.0.0git (https://github.com/RadeonOpenCompute/llvm-project roc-6.4.0 25133 c7fe45cf4b819c5991fe208aaa96edf142730f1d)"
	.section	".note.GNU-stack","",@progbits
	.addrsig
	.addrsig_sym __hip_cuid_5805a705829035d8
	.amdgpu_metadata
---
amdhsa.kernels:
  - .args:
      - .actual_access:  read_only
        .address_space:  global
        .offset:         0
        .size:           8
        .value_kind:     global_buffer
      - .actual_access:  read_only
        .address_space:  global
        .offset:         8
        .size:           8
        .value_kind:     global_buffer
      - .actual_access:  read_only
        .address_space:  global
        .offset:         16
        .size:           8
        .value_kind:     global_buffer
      - .actual_access:  read_only
        .address_space:  global
        .offset:         24
        .size:           8
        .value_kind:     global_buffer
      - .actual_access:  read_only
        .address_space:  global
        .offset:         32
        .size:           8
        .value_kind:     global_buffer
      - .offset:         40
        .size:           8
        .value_kind:     by_value
      - .address_space:  global
        .offset:         48
        .size:           8
        .value_kind:     global_buffer
      - .address_space:  global
        .offset:         56
        .size:           8
        .value_kind:     global_buffer
      - .address_space:  global
        .offset:         64
        .size:           8
        .value_kind:     global_buffer
      - .address_space:  global
        .offset:         72
        .size:           8
        .value_kind:     global_buffer
      - .offset:         80
        .size:           4
        .value_kind:     by_value
      - .address_space:  global
        .offset:         88
        .size:           8
        .value_kind:     global_buffer
      - .address_space:  global
        .offset:         96
        .size:           8
        .value_kind:     global_buffer
    .group_segment_fixed_size: 26656
    .kernarg_segment_align: 8
    .kernarg_segment_size: 104
    .language:       OpenCL C
    .language_version:
      - 2
      - 0
    .max_flat_workgroup_size: 119
    .name:           bluestein_single_back_len1666_dim1_dp_op_CI_CI
    .private_segment_fixed_size: 184
    .sgpr_count:     60
    .sgpr_spill_count: 0
    .symbol:         bluestein_single_back_len1666_dim1_dp_op_CI_CI.kd
    .uniform_work_group_size: 1
    .uses_dynamic_stack: false
    .vgpr_count:     256
    .vgpr_spill_count: 53
    .wavefront_size: 32
    .workgroup_processor_mode: 1
amdhsa.target:   amdgcn-amd-amdhsa--gfx1201
amdhsa.version:
  - 1
  - 2
...

	.end_amdgpu_metadata
